;; amdgpu-corpus repo=ROCm/rocFFT kind=compiled arch=gfx1030 opt=O3
	.text
	.amdgcn_target "amdgcn-amd-amdhsa--gfx1030"
	.amdhsa_code_object_version 6
	.protected	bluestein_single_fwd_len507_dim1_sp_op_CI_CI ; -- Begin function bluestein_single_fwd_len507_dim1_sp_op_CI_CI
	.globl	bluestein_single_fwd_len507_dim1_sp_op_CI_CI
	.p2align	8
	.type	bluestein_single_fwd_len507_dim1_sp_op_CI_CI,@function
bluestein_single_fwd_len507_dim1_sp_op_CI_CI: ; @bluestein_single_fwd_len507_dim1_sp_op_CI_CI
; %bb.0:
	s_load_dwordx4 s[12:15], s[4:5], 0x28
	v_mul_u32_u24_e32 v1, 0x691, v0
	v_lshrrev_b32_e32 v1, 16, v1
	v_mad_u64_u32 v[84:85], null, s6, 3, v[1:2]
	v_mov_b32_e32 v85, 0
                                        ; kill: def $vgpr2 killed $sgpr0 killed $exec
	s_mov_b32 s0, exec_lo
	s_waitcnt lgkmcnt(0)
	v_cmpx_gt_u64_e64 s[12:13], v[84:85]
	s_cbranch_execz .LBB0_10
; %bb.1:
	s_clause 0x1
	s_load_dwordx4 s[8:11], s[4:5], 0x18
	s_load_dwordx4 s[0:3], s[4:5], 0x0
	v_mul_lo_u16 v1, v1, 39
	s_load_dwordx2 s[4:5], s[4:5], 0x38
	v_sub_nc_u16 v24, v0, v1
	v_and_b32_e32 v101, 0xffff, v24
	v_lshlrev_b32_e32 v29, 3, v101
	s_waitcnt lgkmcnt(0)
	s_load_dwordx4 s[16:19], s[8:9], 0x0
	s_clause 0x3
	global_load_dwordx2 v[97:98], v29, s[0:1]
	global_load_dwordx2 v[93:94], v29, s[0:1] offset:312
	global_load_dwordx2 v[95:96], v29, s[0:1] offset:624
	;; [unrolled: 1-line block ×3, first 2 shown]
	v_add_co_u32 v54, s6, s0, v29
	v_add_co_ci_u32_e64 v55, null, s1, 0, s6
	s_clause 0x2
	global_load_dwordx2 v[91:92], v29, s[0:1] offset:1248
	global_load_dwordx2 v[85:86], v29, s[0:1] offset:1560
	;; [unrolled: 1-line block ×3, first 2 shown]
	s_waitcnt lgkmcnt(0)
	v_mad_u64_u32 v[0:1], null, s18, v84, 0
	v_mad_u64_u32 v[2:3], null, s16, v101, 0
	s_mul_i32 s0, s17, 0x138
	s_mul_hi_u32 s1, s16, 0x138
	s_mul_i32 s6, s16, 0x138
	s_add_i32 s1, s1, s0
	v_mad_u64_u32 v[4:5], null, s19, v84, v[1:2]
	v_mad_u64_u32 v[5:6], null, s17, v101, v[3:4]
	v_mov_b32_e32 v1, v4
	v_lshlrev_b64 v[0:1], 3, v[0:1]
	v_mov_b32_e32 v3, v5
	v_add_co_u32 v0, vcc_lo, s14, v0
	v_lshlrev_b64 v[2:3], 3, v[2:3]
	v_add_co_ci_u32_e32 v1, vcc_lo, s15, v1, vcc_lo
	v_add_co_u32 v0, vcc_lo, v0, v2
	v_add_co_ci_u32_e32 v1, vcc_lo, v1, v3, vcc_lo
	v_add_co_u32 v2, vcc_lo, v0, s6
	;; [unrolled: 2-line block ×4, first 2 shown]
	v_add_co_ci_u32_e32 v5, vcc_lo, s1, v3, vcc_lo
	s_clause 0x3
	global_load_dwordx2 v[78:79], v[52:53], off offset:136
	global_load_dwordx2 v[72:73], v[52:53], off offset:448
	;; [unrolled: 1-line block ×4, first 2 shown]
	v_add_co_u32 v6, vcc_lo, v4, s6
	v_add_co_ci_u32_e32 v7, vcc_lo, s1, v5, vcc_lo
	s_clause 0x1
	global_load_dwordx2 v[0:1], v[0:1], off
	global_load_dwordx2 v[2:3], v[2:3], off
	v_add_co_u32 v8, vcc_lo, v6, s6
	v_add_co_ci_u32_e32 v9, vcc_lo, s1, v7, vcc_lo
	v_add_co_u32 v10, vcc_lo, v8, s6
	v_add_co_ci_u32_e32 v11, vcc_lo, s1, v9, vcc_lo
	s_clause 0x2
	global_load_dwordx2 v[4:5], v[4:5], off
	global_load_dwordx2 v[6:7], v[6:7], off
	;; [unrolled: 1-line block ×3, first 2 shown]
	v_add_co_u32 v12, vcc_lo, v10, s6
	v_add_co_ci_u32_e32 v13, vcc_lo, s1, v11, vcc_lo
	global_load_dwordx2 v[10:11], v[10:11], off
	v_add_co_u32 v14, vcc_lo, v12, s6
	v_add_co_ci_u32_e32 v15, vcc_lo, s1, v13, vcc_lo
	global_load_dwordx2 v[12:13], v[12:13], off
	;; [unrolled: 3-line block ×7, first 2 shown]
	s_clause 0x1
	global_load_dwordx2 v[80:81], v[52:53], off offset:1384
	global_load_dwordx2 v[82:83], v[52:53], off offset:1696
	global_load_dwordx2 v[27:28], v[25:26], off
	v_mul_hi_u32 v25, 0xaaaaaaab, v84
	s_load_dwordx4 s[8:11], s[10:11], 0x0
	v_cmp_gt_u16_e32 vcc_lo, 13, v24
	v_lshrrev_b32_e32 v25, 1, v25
	v_lshl_add_u32 v25, v25, 1, v25
	v_sub_nc_u32_e32 v25, v84, v25
	v_mul_u32_u24_e32 v25, 0x1fb, v25
	v_lshlrev_b32_e32 v103, 3, v25
	v_add_nc_u32_e32 v102, v29, v103
	v_add_nc_u32_e32 v25, 0x400, v102
	;; [unrolled: 1-line block ×3, first 2 shown]
	s_waitcnt vmcnt(14)
	v_mul_f32_e32 v29, v1, v98
	v_mul_f32_e32 v30, v0, v98
	s_waitcnt vmcnt(13)
	v_mul_f32_e32 v31, v3, v94
	v_fmac_f32_e32 v29, v0, v97
	v_fma_f32 v30, v1, v97, -v30
	v_mul_f32_e32 v1, v2, v94
	v_fmac_f32_e32 v31, v2, v93
	s_waitcnt vmcnt(12)
	v_mul_f32_e32 v0, v5, v96
	v_mul_f32_e32 v33, v4, v96
	s_waitcnt vmcnt(11)
	v_mul_f32_e32 v2, v7, v90
	v_mul_f32_e32 v34, v6, v90
	v_fma_f32 v32, v3, v93, -v1
	v_fmac_f32_e32 v0, v4, v95
	v_fma_f32 v1, v5, v95, -v33
	v_fmac_f32_e32 v2, v6, v89
	v_fma_f32 v3, v7, v89, -v34
	s_waitcnt vmcnt(10)
	v_mul_f32_e32 v5, v8, v92
	v_mul_f32_e32 v4, v9, v92
	ds_write2_b64 v102, v[29:30], v[31:32] offset1:39
	s_waitcnt vmcnt(9)
	v_mul_f32_e32 v6, v11, v86
	ds_write2_b64 v102, v[0:1], v[2:3] offset0:78 offset1:117
	v_fma_f32 v5, v9, v91, -v5
	v_mul_f32_e32 v1, v10, v86
	s_waitcnt vmcnt(8)
	v_mul_f32_e32 v3, v12, v88
	s_waitcnt vmcnt(7)
	v_mul_f32_e32 v9, v14, v79
	v_mul_f32_e32 v0, v13, v88
	;; [unrolled: 1-line block ×3, first 2 shown]
	v_fmac_f32_e32 v4, v8, v91
	v_fma_f32 v7, v11, v85, -v1
	v_fma_f32 v1, v13, v87, -v3
	s_waitcnt vmcnt(6)
	v_mul_f32_e32 v8, v17, v73
	v_fma_f32 v3, v15, v78, -v9
	v_mul_f32_e32 v9, v16, v73
	v_fmac_f32_e32 v6, v10, v85
	s_waitcnt vmcnt(5)
	v_mul_f32_e32 v10, v19, v77
	v_mul_f32_e32 v11, v18, v77
	v_fmac_f32_e32 v0, v12, v87
	v_fmac_f32_e32 v2, v14, v78
	;; [unrolled: 1-line block ×3, first 2 shown]
	s_waitcnt vmcnt(4)
	v_mul_f32_e32 v12, v21, v75
	v_mul_f32_e32 v13, v20, v75
	v_fma_f32 v9, v17, v72, -v9
	s_waitcnt vmcnt(2)
	v_mul_f32_e32 v14, v23, v81
	v_mul_f32_e32 v15, v22, v81
	s_waitcnt vmcnt(0)
	v_mul_f32_e32 v16, v28, v83
	v_mul_f32_e32 v17, v27, v83
	v_fmac_f32_e32 v10, v18, v76
	v_fma_f32 v11, v19, v76, -v11
	v_fmac_f32_e32 v12, v20, v74
	v_fma_f32 v13, v21, v74, -v13
	;; [unrolled: 2-line block ×4, first 2 shown]
	ds_write2_b64 v102, v[4:5], v[6:7] offset0:156 offset1:195
	ds_write2_b64 v25, v[0:1], v[2:3] offset0:106 offset1:145
	;; [unrolled: 1-line block ×4, first 2 shown]
	ds_write_b64 v102, v[16:17] offset:3744
	s_waitcnt lgkmcnt(0)
	s_barrier
	buffer_gl0_inv
	ds_read2_b64 v[8:11], v102 offset1:39
	ds_read_b64 v[20:21], v102 offset:3744
	ds_read2_b64 v[16:19], v102 offset0:78 offset1:117
	ds_read2_b64 v[0:3], v26 offset0:134 offset1:173
	;; [unrolled: 1-line block ×5, first 2 shown]
	s_waitcnt lgkmcnt(0)
	s_barrier
	buffer_gl0_inv
	v_add_f32_e32 v23, v9, v11
	v_add_f32_e32 v22, v8, v10
	;; [unrolled: 1-line block ×3, first 2 shown]
	v_sub_f32_e32 v11, v11, v21
	v_add_f32_e32 v34, v3, v17
	v_sub_f32_e32 v36, v17, v3
	v_add_f32_e32 v17, v23, v17
	v_add_f32_e32 v31, v20, v10
	v_sub_f32_e32 v10, v10, v20
	v_add_f32_e32 v33, v2, v16
	v_sub_f32_e32 v35, v16, v2
	v_add_f32_e32 v16, v22, v16
	v_mul_f32_e32 v22, 0xbeedf032, v11
	v_mul_f32_e32 v57, 0xbf52af12, v11
	;; [unrolled: 1-line block ×6, first 2 shown]
	v_add_f32_e32 v17, v17, v19
	v_add_f32_e32 v37, v0, v18
	v_sub_f32_e32 v39, v18, v0
	v_add_f32_e32 v42, v7, v13
	v_sub_f32_e32 v44, v13, v7
	v_mul_f32_e32 v23, 0xbeedf032, v10
	v_mul_f32_e32 v58, 0xbf52af12, v10
	;; [unrolled: 1-line block ×6, first 2 shown]
	v_add_f32_e32 v16, v16, v18
	v_fma_f32 v18, 0x3f62ad3f, v31, -v22
	v_fmac_f32_e32 v22, 0x3f62ad3f, v31
	v_fma_f32 v138, 0x3f116cb1, v31, -v57
	v_fmac_f32_e32 v57, 0x3f116cb1, v31
	;; [unrolled: 2-line block ×6, first 2 shown]
	v_add_f32_e32 v13, v17, v13
	v_add_f32_e32 v38, v1, v19
	v_sub_f32_e32 v40, v19, v1
	v_add_f32_e32 v41, v6, v12
	v_sub_f32_e32 v43, v12, v6
	v_fmamk_f32 v19, v32, 0x3f62ad3f, v23
	v_fma_f32 v23, 0x3f62ad3f, v32, -v23
	v_fmamk_f32 v139, v32, 0x3f116cb1, v58
	v_fma_f32 v58, 0x3f116cb1, v32, -v58
	;; [unrolled: 2-line block ×6, first 2 shown]
	v_add_f32_e32 v18, v8, v18
	v_add_f32_e32 v22, v8, v22
	v_add_f32_e32 v138, v8, v138
	v_add_f32_e32 v57, v8, v57
	v_add_f32_e32 v140, v8, v140
	v_add_f32_e32 v59, v8, v59
	v_add_f32_e32 v142, v8, v142
	v_add_f32_e32 v61, v8, v61
	v_add_f32_e32 v144, v8, v144
	v_add_f32_e32 v63, v8, v63
	v_add_f32_e32 v146, v8, v146
	v_add_f32_e32 v12, v16, v12
	v_add_f32_e32 v8, v8, v11
	v_add_f32_e32 v11, v13, v15
	v_mul_f32_e32 v65, 0xbf52af12, v36
	v_add_f32_e32 v19, v9, v19
	v_add_f32_e32 v23, v9, v23
	;; [unrolled: 1-line block ×14, first 2 shown]
	v_mul_f32_e32 v66, 0xbf6f5d39, v36
	v_mul_f32_e32 v67, 0xbe750f2a, v36
	;; [unrolled: 1-line block ×12, first 2 shown]
	v_fma_f32 v32, 0x3f116cb1, v33, -v65
	v_add_f32_e32 v10, v10, v27
	v_add_f32_e32 v11, v11, v30
	;; [unrolled: 1-line block ×3, first 2 shown]
	v_sub_f32_e32 v48, v15, v5
	v_mul_f32_e32 v106, 0xbe750f2a, v40
	v_mul_f32_e32 v107, 0x3f6f5d39, v40
	;; [unrolled: 1-line block ×12, first 2 shown]
	v_fmac_f32_e32 v65, 0x3f116cb1, v33
	v_fma_f32 v147, 0xbeb58ec6, v33, -v66
	v_fmac_f32_e32 v66, 0xbeb58ec6, v33
	v_fma_f32 v148, 0xbf788fa5, v33, -v67
	;; [unrolled: 2-line block ×5, first 2 shown]
	v_fmac_f32_e32 v36, 0x3f62ad3f, v33
	v_fmamk_f32 v33, v34, 0x3f116cb1, v70
	v_fma_f32 v70, 0x3f116cb1, v34, -v70
	v_fmamk_f32 v152, v34, 0xbeb58ec6, v71
	v_fma_f32 v71, 0xbeb58ec6, v34, -v71
	;; [unrolled: 2-line block ×6, first 2 shown]
	v_fma_f32 v35, 0x3df6dbef, v37, -v105
	v_add_f32_e32 v12, v32, v18
	v_add_f32_e32 v10, v10, v29
	v_add_f32_e32 v5, v11, v5
	v_add_f32_e32 v45, v4, v14
	v_sub_f32_e32 v47, v14, v4
	v_sub_f32_e32 v56, v28, v30
	v_mul_f32_e32 v116, 0x3f29c268, v44
	v_mul_f32_e32 v117, 0x3eedf032, v44
	;; [unrolled: 1-line block ×12, first 2 shown]
	v_fmac_f32_e32 v105, 0x3df6dbef, v37
	v_fma_f32 v157, 0xbf788fa5, v37, -v106
	v_fmac_f32_e32 v106, 0xbf788fa5, v37
	v_fma_f32 v158, 0xbeb58ec6, v37, -v107
	;; [unrolled: 2-line block ×5, first 2 shown]
	v_fmac_f32_e32 v40, 0xbf3f9e67, v37
	v_fmamk_f32 v37, v38, 0x3df6dbef, v110
	v_fma_f32 v110, 0x3df6dbef, v38, -v110
	v_fmamk_f32 v162, v38, 0xbf788fa5, v111
	v_fma_f32 v111, 0xbf788fa5, v38, -v111
	v_fmamk_f32 v163, v38, 0xbeb58ec6, v112
	v_fma_f32 v112, 0xbeb58ec6, v38, -v112
	v_fmamk_f32 v164, v38, 0x3f62ad3f, v113
	v_fma_f32 v113, 0x3f62ad3f, v38, -v113
	v_fmamk_f32 v165, v38, 0x3f116cb1, v114
	v_fma_f32 v114, 0x3f116cb1, v38, -v114
	v_fmamk_f32 v166, v38, 0xbf3f9e67, v39
	v_fma_f32 v38, 0xbf3f9e67, v38, -v39
	v_fma_f32 v39, 0xbeb58ec6, v41, -v115
	v_add_f32_e32 v13, v33, v19
	v_add_f32_e32 v12, v35, v12
	;; [unrolled: 1-line block ×9, first 2 shown]
	v_sub_f32_e32 v51, v27, v29
	v_mul_f32_e32 v126, 0x3f7e222b, v48
	v_mul_f32_e32 v127, 0xbf52af12, v48
	;; [unrolled: 1-line block ×12, first 2 shown]
	v_fmac_f32_e32 v115, 0xbeb58ec6, v41
	v_fma_f32 v167, 0xbf3f9e67, v41, -v116
	v_fmac_f32_e32 v116, 0xbf3f9e67, v41
	v_fma_f32 v168, 0x3f62ad3f, v41, -v117
	;; [unrolled: 2-line block ×5, first 2 shown]
	v_fmac_f32_e32 v44, 0x3f116cb1, v41
	v_fmamk_f32 v41, v42, 0xbeb58ec6, v120
	v_fma_f32 v120, 0xbeb58ec6, v42, -v120
	v_fmamk_f32 v172, v42, 0xbf3f9e67, v121
	v_fma_f32 v121, 0xbf3f9e67, v42, -v121
	;; [unrolled: 2-line block ×6, first 2 shown]
	v_fma_f32 v43, 0xbf3f9e67, v45, -v125
	v_add_f32_e32 v18, v152, v139
	v_add_f32_e32 v22, v71, v58
	;; [unrolled: 1-line block ×18, first 2 shown]
	v_mul_f32_e32 v136, 0xbe750f2a, v51
	v_fmac_f32_e32 v125, 0xbf3f9e67, v45
	v_fma_f32 v177, 0x3df6dbef, v45, -v126
	v_fmac_f32_e32 v126, 0x3df6dbef, v45
	v_fma_f32 v178, 0x3f116cb1, v45, -v127
	;; [unrolled: 2-line block ×5, first 2 shown]
	v_fmac_f32_e32 v48, 0xbeb58ec6, v45
	v_fmamk_f32 v45, v46, 0xbf3f9e67, v130
	v_fma_f32 v130, 0xbf3f9e67, v46, -v130
	v_fmamk_f32 v182, v46, 0x3df6dbef, v131
	v_fma_f32 v131, 0x3df6dbef, v46, -v131
	;; [unrolled: 2-line block ×6, first 2 shown]
	v_fma_f32 v47, 0xbf788fa5, v49, -v135
	v_add_f32_e32 v18, v162, v18
	v_add_f32_e32 v22, v111, v22
	;; [unrolled: 1-line block ×7, first 2 shown]
	v_mul_f32_e32 v137, 0x3eedf032, v56
	v_add_f32_e32 v33, v99, v60
	v_add_f32_e32 v58, v154, v143
	v_add_f32_e32 v27, v163, v31
	v_add_f32_e32 v28, v107, v32
	v_add_f32_e32 v32, v159, v57
	v_add_f32_e32 v8, v40, v8
	v_add_f32_e32 v9, v38, v9
	v_add_f32_e32 v14, v115, v14
	v_add_f32_e32 v15, v120, v15
	v_add_f32_e32 v17, v167, v17
	v_add_f32_e32 v16, v176, v16
	v_add_f32_e32 v18, v172, v18
	v_add_f32_e32 v22, v121, v22
	v_add_f32_e32 v23, v168, v23
	v_add_f32_e32 v13, v45, v13
	v_add_f32_e32 v2, v0, v2
	v_add_f32_e32 v0, v47, v12
	v_add_f32_e32 v3, v1, v21
	v_fmamk_f32 v1, v50, 0xbf788fa5, v136
	v_mul_f32_e32 v5, 0x3eedf032, v51
	v_mul_f32_e32 v12, 0xbf29c268, v56
	v_add_f32_e32 v59, v68, v61
	v_add_f32_e32 v60, v100, v62
	v_add_f32_e32 v61, v150, v144
	v_add_f32_e32 v62, v155, v145
	v_add_f32_e32 v19, v106, v19
	v_add_f32_e32 v65, v151, v146
	v_add_f32_e32 v31, v112, v33
	v_add_f32_e32 v33, v164, v58
	v_add_f32_e32 v27, v173, v27
	v_add_f32_e32 v30, v169, v32
	v_add_f32_e32 v8, v44, v8
	v_add_f32_e32 v9, v42, v9
	v_add_f32_e32 v14, v125, v14
	v_add_f32_e32 v15, v130, v15
	v_add_f32_e32 v17, v177, v17
	v_add_f32_e32 v39, v186, v16
	v_fmac_f32_e32 v135, 0xbf788fa5, v49
	v_fma_f32 v4, 0xbf788fa5, v50, -v136
	v_fma_f32 v6, 0x3f62ad3f, v49, -v137
	v_mul_f32_e32 v11, 0xbf29c268, v51
	v_mul_f32_e32 v16, 0x3f52af12, v56
	v_add_f32_e32 v63, v69, v63
	v_add_f32_e32 v64, v104, v64
	;; [unrolled: 1-line block ×6, first 2 shown]
	v_fmamk_f32 v7, v50, 0x3f62ad3f, v5
	v_fma_f32 v10, 0x3f62ad3f, v50, -v5
	v_fma_f32 v13, 0xbf3f9e67, v49, -v12
	v_add_f32_e32 v34, v108, v59
	v_add_f32_e32 v35, v113, v60
	;; [unrolled: 1-line block ×16, first 2 shown]
	v_fmamk_f32 v14, v50, 0xbf3f9e67, v11
	v_fma_f32 v15, 0x3f116cb1, v49, -v16
	v_mul_f32_e32 v17, 0x3f52af12, v51
	v_add_f32_e32 v57, v109, v63
	v_add_f32_e32 v58, v114, v64
	;; [unrolled: 1-line block ×5, first 2 shown]
	v_mul_lo_u16 v23, v24, 13
	v_add_f32_e32 v32, v118, v34
	v_add_f32_e32 v33, v123, v35
	;; [unrolled: 1-line block ×6, first 2 shown]
	v_fmac_f32_e32 v137, 0x3f62ad3f, v49
	v_mul_f32_e32 v20, 0xbf6f5d39, v56
	v_mul_f32_e32 v21, 0xbf6f5d39, v51
	v_add_f32_e32 v38, v171, v59
	v_add_f32_e32 v28, v127, v28
	;; [unrolled: 1-line block ×4, first 2 shown]
	v_fmac_f32_e32 v12, 0xbf3f9e67, v49
	v_fma_f32 v13, 0xbf3f9e67, v50, -v11
	v_add_f32_e32 v11, v14, v27
	v_add_f32_e32 v14, v15, v30
	v_fmamk_f32 v15, v50, 0x3f116cb1, v17
	v_mul_f32_e32 v27, 0x3f7e222b, v56
	v_mul_f32_e32 v22, 0x3f7e222b, v51
	v_add_f32_e32 v36, v119, v57
	v_add_f32_e32 v37, v124, v58
	v_and_b32_e32 v30, 0xffff, v23
	v_add_f32_e32 v34, v180, v34
	v_add_f32_e32 v35, v185, v35
	v_add_f32_e32 v6, v137, v19
	v_fma_f32 v18, 0xbeb58ec6, v49, -v20
	v_fmamk_f32 v19, v50, 0xbeb58ec6, v21
	v_add_f32_e32 v38, v181, v38
	v_add_f32_e32 v12, v12, v28
	;; [unrolled: 1-line block ×4, first 2 shown]
	v_fma_f32 v28, 0x3df6dbef, v49, -v27
	v_fmamk_f32 v29, v50, 0x3df6dbef, v22
	v_fmac_f32_e32 v27, 0x3df6dbef, v49
	v_fma_f32 v31, 0x3df6dbef, v50, -v22
	v_add_f32_e32 v32, v128, v32
	v_add_f32_e32 v33, v133, v33
	;; [unrolled: 1-line block ×4, first 2 shown]
	v_fmac_f32_e32 v16, 0x3f116cb1, v49
	v_fma_f32 v17, 0x3f116cb1, v50, -v17
	v_fmac_f32_e32 v20, 0xbeb58ec6, v49
	v_fma_f32 v21, 0xbeb58ec6, v50, -v21
	v_lshl_add_u32 v60, v30, 3, v103
	v_add_f32_e32 v18, v18, v34
	v_add_f32_e32 v19, v19, v35
	v_add_f32_e32 v22, v28, v38
	v_add_f32_e32 v23, v29, v39
	v_add_f32_e32 v27, v27, v40
	v_add_f32_e32 v28, v31, v41
	v_add_f32_e32 v16, v16, v32
	v_add_f32_e32 v17, v17, v33
	v_add_f32_e32 v20, v20, v36
	v_add_f32_e32 v21, v21, v37
	ds_write2_b64 v60, v[2:3], v[0:1] offset1:1
	ds_write2_b64 v60, v[4:5], v[10:11] offset0:2 offset1:3
	ds_write2_b64 v60, v[14:15], v[18:19] offset0:4 offset1:5
	;; [unrolled: 1-line block ×5, first 2 shown]
	ds_write_b64 v60, v[8:9] offset:96
	s_waitcnt lgkmcnt(0)
	s_barrier
	buffer_gl0_inv
	ds_read2_b64 v[20:23], v102 offset1:39
	ds_read2_b64 v[32:35], v102 offset0:169 offset1:208
	ds_read2_b64 v[40:43], v26 offset0:82 offset1:121
	;; [unrolled: 1-line block ×5, first 2 shown]
                                        ; implicit-def: $vgpr48
	s_and_saveexec_b32 s0, vcc_lo
	s_cbranch_execz .LBB0_3
; %bb.2:
	ds_read2_b64 v[8:11], v25 offset0:28 offset1:197
	ds_read_b64 v[48:49], v102 offset:3952
.LBB0_3:
	s_or_b32 exec_lo, exec_lo, s0
	v_and_b32_e32 v0, 0xff, v101
	v_add_nc_u16 v1, v101, 39
	v_add_nc_u16 v2, v101, 0x4e
	v_mov_b32_e32 v6, 4
	v_mov_b32_e32 v64, 39
	v_mul_lo_u16 v0, 0x4f, v0
	v_and_b32_e32 v3, 0xff, v1
	v_and_b32_e32 v4, 0xff, v2
	v_lshrrev_b16 v50, 10, v0
	v_add_nc_u16 v0, v101, 0x75
	v_mul_lo_u16 v3, 0x4f, v3
	v_mul_lo_u16 v4, 0x4f, v4
	;; [unrolled: 1-line block ×3, first 2 shown]
	v_and_b32_e32 v7, 0xff, v0
	v_lshrrev_b16 v51, 10, v3
	v_add_nc_u16 v3, v101, 0x9c
	v_lshrrev_b16 v57, 10, v4
	v_sub_nc_u16 v56, v101, v5
	v_mul_lo_u16 v5, 0x4f, v7
	v_mul_lo_u16 v4, v51, 13
	v_and_b32_e32 v12, 0xff, v3
	v_mul_u32_u24_sdwa v50, v50, v64 dst_sel:DWORD dst_unused:UNUSED_PAD src0_sel:WORD_0 src1_sel:DWORD
	v_lshlrev_b32_sdwa v7, v6, v56 dst_sel:DWORD dst_unused:UNUSED_PAD src0_sel:DWORD src1_sel:BYTE_0
	v_lshrrev_b16 v58, 10, v5
	v_mul_lo_u16 v5, v57, 13
	v_sub_nc_u16 v59, v1, v4
	v_mul_lo_u16 v1, 0x4f, v12
	global_load_dwordx4 v[28:31], v7, s[2:3]
	v_mul_lo_u16 v4, v58, 13
	v_sub_nc_u16 v61, v2, v5
	v_lshlrev_b32_sdwa v2, v6, v59 dst_sel:DWORD dst_unused:UNUSED_PAD src0_sel:DWORD src1_sel:BYTE_0
	v_lshrrev_b16 v1, 10, v1
	v_mul_u32_u24_sdwa v51, v51, v64 dst_sel:DWORD dst_unused:UNUSED_PAD src0_sel:WORD_0 src1_sel:DWORD
	v_sub_nc_u16 v62, v0, v4
	v_lshlrev_b32_sdwa v0, v6, v61 dst_sel:DWORD dst_unused:UNUSED_PAD src0_sel:DWORD src1_sel:BYTE_0
	global_load_dwordx4 v[24:27], v2, s[2:3]
	v_mul_u32_u24_sdwa v57, v57, v64 dst_sel:DWORD dst_unused:UNUSED_PAD src0_sel:WORD_0 src1_sel:DWORD
	v_mul_u32_u24_sdwa v58, v58, v64 dst_sel:DWORD dst_unused:UNUSED_PAD src0_sel:WORD_0 src1_sel:DWORD
	v_add_nc_u32_sdwa v50, v50, v56 dst_sel:DWORD dst_unused:UNUSED_PAD src0_sel:DWORD src1_sel:BYTE_0
	global_load_dwordx4 v[12:15], v0, s[2:3]
	v_mul_lo_u16 v0, v1, 13
	v_lshlrev_b32_sdwa v2, v6, v62 dst_sel:DWORD dst_unused:UNUSED_PAD src0_sel:DWORD src1_sel:BYTE_0
	v_add_nc_u32_sdwa v51, v51, v59 dst_sel:DWORD dst_unused:UNUSED_PAD src0_sel:DWORD src1_sel:BYTE_0
	v_add_nc_u32_sdwa v56, v57, v61 dst_sel:DWORD dst_unused:UNUSED_PAD src0_sel:DWORD src1_sel:BYTE_0
	;; [unrolled: 1-line block ×3, first 2 shown]
	v_sub_nc_u16 v63, v3, v0
	global_load_dwordx4 v[4:7], v2, s[2:3]
	v_lshl_add_u32 v107, v50, 3, v103
	v_lshl_add_u32 v106, v51, 3, v103
	;; [unrolled: 1-line block ×3, first 2 shown]
	v_lshlrev_b16 v0, 1, v63
	v_lshl_add_u32 v104, v57, 3, v103
	v_and_b32_e32 v0, 0xfe, v0
	v_lshlrev_b32_e32 v0, 3, v0
	global_load_dwordx4 v[0:3], v0, s[2:3]
	s_waitcnt vmcnt(0) lgkmcnt(0)
	s_barrier
	buffer_gl0_inv
	v_mul_f32_e32 v50, v33, v29
	v_mul_f32_e32 v51, v32, v29
	v_mul_f32_e32 v56, v41, v31
	v_mul_f32_e32 v57, v40, v31
	v_fma_f32 v32, v32, v28, -v50
	v_fmac_f32_e32 v51, v33, v28
	v_fma_f32 v40, v40, v30, -v56
	v_fmac_f32_e32 v57, v41, v30
	v_mul_f32_e32 v33, v35, v25
	v_mul_f32_e32 v41, v34, v25
	;; [unrolled: 1-line block ×8, first 2 shown]
	v_fma_f32 v68, v34, v24, -v33
	v_fmac_f32_e32 v41, v35, v24
	v_mul_f32_e32 v65, v38, v5
	v_mul_f32_e32 v66, v47, v7
	;; [unrolled: 1-line block ×4, first 2 shown]
	v_fma_f32 v42, v42, v26, -v50
	v_fmac_f32_e32 v56, v43, v26
	v_fmac_f32_e32 v59, v37, v12
	;; [unrolled: 1-line block ×4, first 2 shown]
	v_fma_f32 v45, v46, v6, -v66
	v_fmac_f32_e32 v67, v47, v6
	v_add_f32_e32 v34, v20, v32
	v_add_f32_e32 v35, v32, v40
	v_sub_f32_e32 v39, v51, v57
	v_add_f32_e32 v37, v21, v51
	v_add_f32_e32 v46, v51, v57
	v_sub_f32_e32 v47, v32, v40
	v_fma_f32 v43, v36, v12, -v58
	v_fma_f32 v44, v44, v14, -v61
	v_mul_f32_e32 v50, v11, v1
	v_mul_f32_e32 v33, v10, v1
	;; [unrolled: 1-line block ×4, first 2 shown]
	v_fma_f32 v38, v38, v4, -v64
	v_fma_f32 v36, -0.5, v35, v20
	v_add_f32_e32 v35, v37, v57
	v_fma_f32 v37, -0.5, v46, v21
	v_add_f32_e32 v46, v68, v42
	v_add_f32_e32 v58, v23, v41
	;; [unrolled: 1-line block ×3, first 2 shown]
	v_fma_f32 v20, v10, v0, -v50
	v_fmac_f32_e32 v33, v11, v0
	v_fma_f32 v10, v48, v2, -v51
	v_fmac_f32_e32 v32, v49, v2
	v_add_f32_e32 v21, v22, v68
	v_sub_f32_e32 v57, v41, v56
	v_sub_f32_e32 v64, v68, v42
	v_add_f32_e32 v66, v16, v43
	v_add_f32_e32 v68, v43, v44
	v_sub_f32_e32 v69, v59, v62
	v_add_f32_e32 v70, v17, v59
	v_add_f32_e32 v59, v59, v62
	v_add_f32_e32 v99, v18, v38
	v_add_f32_e32 v100, v38, v45
	v_fma_f32 v22, -0.5, v46, v22
	v_add_f32_e32 v41, v58, v56
	v_fmac_f32_e32 v23, -0.5, v61
	v_add_f32_e32 v11, v20, v10
	v_add_f32_e32 v56, v33, v32
	v_sub_f32_e32 v108, v65, v67
	v_add_f32_e32 v109, v19, v65
	v_add_f32_e32 v65, v65, v67
	;; [unrolled: 1-line block ×3, first 2 shown]
	v_sub_f32_e32 v71, v43, v44
	v_sub_f32_e32 v110, v38, v45
	v_fmamk_f32 v38, v39, 0x3f5db3d7, v36
	v_fmac_f32_e32 v36, 0xbf5db3d7, v39
	v_fmamk_f32 v39, v47, 0xbf5db3d7, v37
	v_fmac_f32_e32 v37, 0x3f5db3d7, v47
	v_add_f32_e32 v40, v21, v42
	v_add_f32_e32 v42, v66, v44
	v_fma_f32 v16, -0.5, v68, v16
	v_fma_f32 v17, -0.5, v59, v17
	v_add_f32_e32 v44, v99, v45
	v_fma_f32 v18, -0.5, v100, v18
	v_fmamk_f32 v46, v57, 0x3f5db3d7, v22
	v_fmac_f32_e32 v22, 0xbf5db3d7, v57
	v_fmamk_f32 v47, v64, 0xbf5db3d7, v23
	v_sub_f32_e32 v21, v33, v32
	v_sub_f32_e32 v57, v20, v10
	v_fma_f32 v99, -0.5, v11, v8
	v_fma_f32 v100, -0.5, v56, v9
	v_fmac_f32_e32 v23, 0x3f5db3d7, v64
	v_fmac_f32_e32 v19, -0.5, v65
	v_add_f32_e32 v43, v70, v62
	v_fmamk_f32 v48, v69, 0x3f5db3d7, v16
	v_fmamk_f32 v49, v71, 0xbf5db3d7, v17
	;; [unrolled: 1-line block ×3, first 2 shown]
	v_fmac_f32_e32 v18, 0xbf5db3d7, v108
	ds_write2_b64 v107, v[34:35], v[38:39] offset1:13
	ds_write_b64 v107, v[36:37] offset:208
	ds_write2_b64 v106, v[40:41], v[46:47] offset1:13
	ds_write_b64 v106, v[22:23] offset:208
	v_fmamk_f32 v46, v21, 0x3f5db3d7, v99
	v_fmac_f32_e32 v99, 0xbf5db3d7, v21
	v_fmamk_f32 v47, v57, 0xbf5db3d7, v100
	v_fmac_f32_e32 v100, 0x3f5db3d7, v57
	v_and_b32_e32 v108, 0xff, v63
	v_fmac_f32_e32 v16, 0xbf5db3d7, v69
	v_fmac_f32_e32 v17, 0x3f5db3d7, v71
	v_add_f32_e32 v45, v109, v67
	v_fmamk_f32 v51, v110, 0xbf5db3d7, v19
	v_fmac_f32_e32 v19, 0x3f5db3d7, v110
	ds_write2_b64 v105, v[42:43], v[48:49] offset1:13
	ds_write_b64 v105, v[16:17] offset:208
	ds_write2_b64 v104, v[44:45], v[50:51] offset1:13
	ds_write_b64 v104, v[18:19] offset:208
	s_and_saveexec_b32 s0, vcc_lo
	s_cbranch_execz .LBB0_5
; %bb.4:
	v_add_f32_e32 v9, v9, v33
	v_add_f32_e32 v8, v8, v20
	v_lshl_add_u32 v11, v108, 3, v103
	v_add_f32_e32 v9, v9, v32
	v_add_f32_e32 v8, v8, v10
	v_add_nc_u32_e32 v10, 0x800, v11
	ds_write2_b64 v10, v[8:9], v[46:47] offset0:212 offset1:225
	ds_write_b64 v11, v[99:100] offset:3952
.LBB0_5:
	s_or_b32 exec_lo, exec_lo, s0
	v_mad_u64_u32 v[16:17], null, 0x60, v101, s[2:3]
	s_waitcnt lgkmcnt(0)
	s_barrier
	buffer_gl0_inv
	v_add_nc_u32_e32 v109, 0x400, v102
	v_add_nc_u32_e32 v110, 0x800, v102
	s_clause 0x5
	global_load_dwordx4 v[40:43], v[16:17], off offset:208
	global_load_dwordx4 v[36:39], v[16:17], off offset:224
	;; [unrolled: 1-line block ×6, first 2 shown]
	ds_read2_b64 v[48:51], v102 offset1:39
	ds_read2_b64 v[62:65], v102 offset0:78 offset1:117
	ds_read2_b64 v[111:114], v102 offset0:156 offset1:195
	;; [unrolled: 1-line block ×5, first 2 shown]
	ds_read_b64 v[127:128], v102 offset:3744
	s_waitcnt vmcnt(5) lgkmcnt(6)
	v_mul_f32_e32 v71, v50, v41
	v_mul_f32_e32 v66, v51, v41
	s_waitcnt lgkmcnt(5)
	v_mul_f32_e32 v69, v63, v43
	v_mul_f32_e32 v129, v62, v43
	s_waitcnt vmcnt(4) lgkmcnt(4)
	v_mul_f32_e32 v68, v111, v39
	s_waitcnt vmcnt(0) lgkmcnt(0)
	v_mul_f32_e32 v139, v128, v19
	v_mul_f32_e32 v59, v127, v19
	v_fmac_f32_e32 v71, v51, v40
	v_mul_f32_e32 v70, v65, v37
	v_mul_f32_e32 v130, v64, v37
	;; [unrolled: 1-line block ×7, first 2 shown]
	v_fma_f32 v140, v50, v40, -v66
	v_fma_f32 v141, v62, v42, -v69
	v_fmac_f32_e32 v129, v63, v42
	v_fmac_f32_e32 v68, v112, v38
	v_fma_f32 v62, v127, v18, -v139
	v_fmac_f32_e32 v59, v128, v18
	v_add_f32_e32 v112, v49, v71
	v_mul_f32_e32 v132, v114, v21
	v_mul_f32_e32 v44, v115, v23
	;; [unrolled: 1-line block ×9, first 2 shown]
	v_fma_f32 v142, v64, v36, -v70
	v_fmac_f32_e32 v130, v65, v36
	v_fma_f32 v70, v111, v38, -v131
	v_fmac_f32_e32 v67, v114, v20
	v_fma_f32 v50, v115, v22, -v133
	v_fma_f32 v63, v125, v16, -v138
	v_fmac_f32_e32 v58, v126, v16
	v_add_f32_e32 v111, v48, v140
	v_add_f32_e32 v114, v71, v59
	v_sub_f32_e32 v115, v140, v62
	v_sub_f32_e32 v71, v71, v59
	v_add_f32_e32 v112, v112, v129
	v_mul_f32_e32 v61, v119, v11
	v_fma_f32 v69, v113, v20, -v132
	v_fmac_f32_e32 v44, v116, v22
	v_fma_f32 v51, v117, v8, -v134
	v_fmac_f32_e32 v45, v118, v8
	v_fma_f32 v66, v119, v10, -v135
	v_fma_f32 v65, v121, v32, -v136
	v_fmac_f32_e32 v56, v122, v32
	v_fma_f32 v64, v123, v34, -v137
	v_fmac_f32_e32 v57, v124, v34
	v_add_f32_e32 v113, v140, v62
	v_add_f32_e32 v116, v141, v63
	;; [unrolled: 1-line block ×3, first 2 shown]
	v_sub_f32_e32 v118, v141, v63
	v_sub_f32_e32 v119, v129, v58
	v_add_f32_e32 v111, v111, v141
	v_mul_f32_e32 v129, 0xbeedf032, v71
	v_mul_f32_e32 v134, 0xbeedf032, v115
	;; [unrolled: 1-line block ×12, first 2 shown]
	v_add_f32_e32 v112, v112, v130
	v_fmac_f32_e32 v61, v120, v10
	v_add_f32_e32 v120, v142, v64
	v_add_f32_e32 v121, v130, v57
	v_sub_f32_e32 v122, v142, v64
	v_sub_f32_e32 v123, v130, v57
	v_add_f32_e32 v125, v68, v56
	v_sub_f32_e32 v127, v68, v56
	v_mul_f32_e32 v144, 0xbf52af12, v119
	v_mul_f32_e32 v145, 0xbf52af12, v118
	;; [unrolled: 1-line block ×12, first 2 shown]
	v_add_f32_e32 v111, v111, v142
	v_fma_f32 v130, 0x3f62ad3f, v113, -v129
	v_fmamk_f32 v142, v114, 0x3f62ad3f, v134
	v_fmac_f32_e32 v129, 0x3f62ad3f, v113
	v_fma_f32 v134, 0x3f62ad3f, v114, -v134
	v_fma_f32 v184, 0x3f116cb1, v113, -v135
	v_fmamk_f32 v185, v114, 0x3f116cb1, v136
	v_fmac_f32_e32 v135, 0x3f116cb1, v113
	v_fma_f32 v136, 0x3f116cb1, v114, -v136
	;; [unrolled: 4-line block ×6, first 2 shown]
	v_add_f32_e32 v68, v112, v68
	v_add_f32_e32 v124, v70, v65
	v_sub_f32_e32 v126, v70, v65
	v_add_f32_e32 v131, v67, v61
	v_sub_f32_e32 v133, v67, v61
	v_mul_f32_e32 v154, 0xbf7e222b, v123
	v_mul_f32_e32 v155, 0xbf7e222b, v122
	;; [unrolled: 1-line block ×12, first 2 shown]
	v_fma_f32 v114, 0x3f116cb1, v116, -v144
	v_fmac_f32_e32 v144, 0x3f116cb1, v116
	v_fma_f32 v194, 0xbeb58ec6, v116, -v146
	v_fmac_f32_e32 v146, 0xbeb58ec6, v116
	;; [unrolled: 2-line block ×6, first 2 shown]
	v_fma_f32 v116, 0x3f62ad3f, v117, -v118
	v_add_f32_e32 v70, v111, v70
	v_add_f32_e32 v111, v48, v130
	;; [unrolled: 1-line block ×15, first 2 shown]
	v_mul_f32_e32 v164, 0xbf6f5d39, v127
	v_mul_f32_e32 v165, 0xbf6f5d39, v126
	v_mul_f32_e32 v166, 0x3f29c268, v127
	v_mul_f32_e32 v167, 0x3f29c268, v126
	v_mul_f32_e32 v168, 0x3eedf032, v127
	v_mul_f32_e32 v169, 0x3eedf032, v126
	v_mul_f32_e32 v170, 0xbf7e222b, v127
	v_mul_f32_e32 v171, 0xbf7e222b, v126
	v_mul_f32_e32 v172, 0x3e750f2a, v127
	v_mul_f32_e32 v173, 0x3e750f2a, v126
	v_mul_f32_e32 v127, 0x3f52af12, v127
	v_mul_f32_e32 v126, 0x3f52af12, v126
	v_fmamk_f32 v115, v117, 0x3f116cb1, v145
	v_fma_f32 v145, 0x3f116cb1, v117, -v145
	v_fmamk_f32 v195, v117, 0xbeb58ec6, v147
	v_fma_f32 v147, 0xbeb58ec6, v117, -v147
	;; [unrolled: 2-line block ×6, first 2 shown]
	v_fmac_f32_e32 v154, 0x3df6dbef, v120
	v_fma_f32 v204, 0xbf788fa5, v120, -v156
	v_fmac_f32_e32 v156, 0xbf788fa5, v120
	v_fma_f32 v206, 0xbeb58ec6, v120, -v158
	;; [unrolled: 2-line block ×6, first 2 shown]
	v_add_f32_e32 v49, v116, v49
	v_add_f32_e32 v67, v67, v44
	v_fmamk_f32 v118, v121, 0x3df6dbef, v155
	v_fma_f32 v155, 0x3df6dbef, v121, -v155
	v_fmamk_f32 v205, v121, 0xbf788fa5, v157
	v_fma_f32 v157, 0xbf788fa5, v121, -v157
	v_fmamk_f32 v207, v121, 0xbeb58ec6, v159
	v_fma_f32 v159, 0xbeb58ec6, v121, -v159
	v_fmamk_f32 v209, v121, 0x3f62ad3f, v161
	v_fma_f32 v161, 0x3f62ad3f, v121, -v161
	v_fmamk_f32 v211, v121, 0x3f116cb1, v163
	v_fma_f32 v163, 0x3f116cb1, v121, -v163
	v_fmamk_f32 v213, v121, 0xbf3f9e67, v122
	v_fma_f32 v121, 0xbeb58ec6, v124, -v164
	v_fmac_f32_e32 v164, 0xbeb58ec6, v124
	v_fma_f32 v214, 0xbf3f9e67, v124, -v166
	v_fmac_f32_e32 v166, 0xbf3f9e67, v124
	v_fma_f32 v216, 0x3f62ad3f, v124, -v168
	;; [unrolled: 2-line block ×6, first 2 shown]
	v_add_f32_e32 v49, v120, v49
	v_add_f32_e32 v67, v67, v45
	;; [unrolled: 1-line block ×3, first 2 shown]
	v_sub_f32_e32 v132, v69, v66
	v_add_f32_e32 v129, v48, v129
	v_add_f32_e32 v134, v48, v184
	;; [unrolled: 1-line block ×26, first 2 shown]
	v_mul_f32_e32 v174, 0xbf29c268, v133
	v_mul_f32_e32 v175, 0xbf29c268, v132
	;; [unrolled: 1-line block ×4, first 2 shown]
	v_fmamk_f32 v122, v125, 0xbeb58ec6, v165
	v_fmamk_f32 v215, v125, 0xbf3f9e67, v167
	v_fma_f32 v167, 0xbf3f9e67, v125, -v167
	v_fmamk_f32 v219, v125, 0x3df6dbef, v171
	v_add_f32_e32 v113, v195, v142
	v_add_f32_e32 v114, v146, v135
	;; [unrolled: 1-line block ×19, first 2 shown]
	v_mul_f32_e32 v179, 0xbf52af12, v132
	v_mul_f32_e32 v183, 0x3eedf032, v132
	v_fma_f32 v165, 0xbeb58ec6, v125, -v165
	v_fmamk_f32 v217, v125, 0x3f62ad3f, v169
	v_fma_f32 v169, 0x3f62ad3f, v125, -v169
	v_fma_f32 v171, 0x3df6dbef, v125, -v171
	v_fmamk_f32 v221, v125, 0xbf788fa5, v173
	v_fma_f32 v173, 0xbf788fa5, v125, -v173
	v_fmamk_f32 v223, v125, 0x3f116cb1, v126
	;; [unrolled: 2-line block ×3, first 2 shown]
	v_fmac_f32_e32 v174, 0xbf3f9e67, v128
	v_fmamk_f32 v225, v131, 0x3df6dbef, v177
	v_fma_f32 v177, 0x3df6dbef, v131, -v177
	v_fmamk_f32 v229, v131, 0xbf788fa5, v181
	v_add_f32_e32 v143, v153, v143
	v_add_f32_e32 v113, v205, v113
	;; [unrolled: 1-line block ×17, first 2 shown]
	v_mul_f32_e32 v57, 0xbf6f5d39, v133
	v_mul_f32_e32 v176, 0x3f7e222b, v133
	v_mul_f32_e32 v178, 0xbf52af12, v133
	v_mul_f32_e32 v180, 0x3e750f2a, v133
	v_mul_f32_e32 v182, 0x3eedf032, v133
	v_fmamk_f32 v227, v131, 0x3f116cb1, v179
	v_fma_f32 v179, 0x3f116cb1, v131, -v179
	v_fma_f32 v181, 0xbf788fa5, v131, -v181
	v_add_f32_e32 v141, v152, v141
	v_add_f32_e32 v145, v203, v191
	;; [unrolled: 1-line block ×20, first 2 shown]
	v_fmamk_f32 v56, v131, 0x3f62ad3f, v183
	v_fma_f32 v58, 0xbeb58ec6, v128, -v57
	v_mul_f32_e32 v59, 0xbf6f5d39, v132
	v_sub_f32_e32 v121, v44, v45
	v_sub_f32_e32 v126, v50, v51
	v_fma_f32 v175, 0xbf3f9e67, v131, -v175
	v_fma_f32 v224, 0x3df6dbef, v128, -v176
	v_fmac_f32_e32 v176, 0x3df6dbef, v128
	v_fma_f32 v226, 0x3f116cb1, v128, -v178
	v_fmac_f32_e32 v178, 0x3f116cb1, v128
	;; [unrolled: 2-line block ×3, first 2 shown]
	v_fma_f32 v230, 0x3f62ad3f, v128, -v182
	v_add_f32_e32 v112, v204, v112
	v_add_f32_e32 v114, v156, v114
	;; [unrolled: 1-line block ×14, first 2 shown]
	v_fmac_f32_e32 v182, 0x3f62ad3f, v128
	v_add_f32_e32 v119, v56, v130
	v_fma_f32 v56, 0x3f62ad3f, v131, -v183
	v_add_f32_e32 v123, v58, v136
	v_add_f32_e32 v125, v50, v51
	v_mul_f32_e32 v58, 0xbe750f2a, v121
	v_fmac_f32_e32 v57, 0xbeb58ec6, v128
	v_fma_f32 v50, 0xbeb58ec6, v131, -v59
	v_add_f32_e32 v128, v44, v45
	v_mul_f32_e32 v45, 0xbe750f2a, v126
	v_add_f32_e32 v112, v214, v112
	v_add_f32_e32 v114, v166, v114
	;; [unrolled: 1-line block ×9, first 2 shown]
	v_fmamk_f32 v56, v131, 0xbeb58ec6, v59
	v_fma_f32 v44, 0xbf788fa5, v125, -v58
	v_add_f32_e32 v127, v57, v127
	v_add_f32_e32 v124, v50, v124
	v_fmamk_f32 v50, v128, 0xbf788fa5, v45
	v_mul_f32_e32 v59, 0x3eedf032, v121
	v_fmac_f32_e32 v58, 0xbf788fa5, v125
	v_mul_f32_e32 v57, 0x3eedf032, v126
	v_mul_f32_e32 v63, 0xbf29c268, v121
	v_add_f32_e32 v69, v224, v112
	v_add_f32_e32 v65, v176, v114
	;; [unrolled: 1-line block ×7, first 2 shown]
	v_fma_f32 v51, 0xbf788fa5, v128, -v45
	v_add_f32_e32 v45, v50, v66
	v_fma_f32 v56, 0x3f62ad3f, v125, -v59
	v_add_f32_e32 v50, v58, v67
	v_fmamk_f32 v58, v128, 0x3f62ad3f, v57
	v_fmac_f32_e32 v59, 0x3f62ad3f, v125
	v_fma_f32 v61, 0x3f62ad3f, v128, -v57
	v_fma_f32 v62, 0xbf3f9e67, v125, -v63
	v_mul_f32_e32 v66, 0xbf29c268, v126
	v_mul_f32_e32 v67, 0x3f52af12, v121
	v_add_f32_e32 v114, v228, v120
	v_add_f32_e32 v51, v51, v68
	;; [unrolled: 1-line block ×6, first 2 shown]
	v_fmamk_f32 v62, v128, 0xbf3f9e67, v66
	v_fma_f32 v65, 0xbf3f9e67, v128, -v66
	v_fma_f32 v66, 0x3f116cb1, v125, -v67
	v_mul_f32_e32 v68, 0x3f52af12, v126
	v_fmac_f32_e32 v63, 0xbf3f9e67, v125
	v_add_f32_e32 v134, v172, v138
	v_add_f32_e32 v62, v62, v64
	;; [unrolled: 1-line block ×4, first 2 shown]
	v_fmamk_f32 v66, v128, 0x3f116cb1, v68
	v_mul_f32_e32 v71, 0xbf6f5d39, v121
	v_add_f32_e32 v63, v63, v112
	v_mul_f32_e32 v112, 0xbf6f5d39, v126
	v_add_f32_e32 v120, v182, v134
	v_add_f32_e32 v56, v56, v69
	v_fmac_f32_e32 v67, 0x3f116cb1, v125
	v_add_f32_e32 v66, v66, v115
	v_fma_f32 v69, 0xbeb58ec6, v125, -v71
	v_fmac_f32_e32 v71, 0xbeb58ec6, v125
	v_mul_f32_e32 v115, 0x3f7e222b, v121
	v_mul_f32_e32 v113, 0x3f7e222b, v126
	v_fmamk_f32 v70, v128, 0xbeb58ec6, v112
	v_add_f32_e32 v67, v67, v116
	v_add_f32_e32 v111, v71, v120
	v_fma_f32 v71, 0x3df6dbef, v125, -v115
	v_fmamk_f32 v114, v128, 0x3df6dbef, v113
	v_fmac_f32_e32 v115, 0x3df6dbef, v125
	v_fma_f32 v116, 0x3df6dbef, v128, -v113
	v_fma_f32 v68, 0x3f116cb1, v128, -v68
	;; [unrolled: 1-line block ×3, first 2 shown]
	v_add_f32_e32 v69, v69, v118
	v_add_f32_e32 v70, v70, v119
	;; [unrolled: 1-line block ×8, first 2 shown]
	ds_write2_b64 v102, v[48:49], v[44:45] offset1:39
	ds_write2_b64 v102, v[56:57], v[61:62] offset0:78 offset1:117
	ds_write2_b64 v102, v[65:66], v[69:70] offset0:156 offset1:195
	;; [unrolled: 1-line block ×5, first 2 shown]
	ds_write_b64 v102, v[50:51] offset:3744
	v_add_co_u32 v44, s0, 0xfd8, v54
	v_add_co_ci_u32_e64 v45, s0, 0, v55, s0
	v_add_co_u32 v48, s0, 0x1800, v54
	s_waitcnt lgkmcnt(0)
	s_barrier
	buffer_gl0_inv
	s_clause 0x4
	global_load_dwordx2 v[69:70], v[52:53], off offset:2008
	global_load_dwordx2 v[115:116], v[44:45], off offset:312
	;; [unrolled: 1-line block ×5, first 2 shown]
	v_add_co_ci_u32_e64 v49, s0, 0, v55, s0
	s_clause 0x7
	global_load_dwordx2 v[123:124], v[44:45], off offset:1560
	global_load_dwordx2 v[44:45], v[44:45], off offset:1872
	;; [unrolled: 1-line block ×8, first 2 shown]
	ds_read2_b64 v[48:51], v102 offset1:39
	ds_read2_b64 v[52:55], v102 offset0:78 offset1:117
	ds_read2_b64 v[56:59], v102 offset0:156 offset1:195
	;; [unrolled: 1-line block ×5, first 2 shown]
	ds_read_b64 v[137:138], v102 offset:3744
	s_waitcnt vmcnt(12) lgkmcnt(6)
	v_mul_f32_e32 v139, v49, v70
	v_mul_f32_e32 v71, v48, v70
	s_waitcnt vmcnt(11)
	v_mul_f32_e32 v141, v51, v116
	v_mul_f32_e32 v140, v50, v116
	s_waitcnt vmcnt(10) lgkmcnt(5)
	v_mul_f32_e32 v142, v53, v118
	v_mul_f32_e32 v116, v52, v118
	s_waitcnt vmcnt(9)
	v_mul_f32_e32 v143, v55, v120
	v_mul_f32_e32 v118, v54, v120
	;; [unrolled: 6-line block ×6, first 2 shown]
	s_waitcnt vmcnt(0) lgkmcnt(0)
	v_mul_f32_e32 v152, v138, v136
	v_mul_f32_e32 v134, v137, v136
	v_fma_f32 v70, v48, v69, -v139
	v_fmac_f32_e32 v71, v49, v69
	v_fma_f32 v139, v50, v115, -v141
	v_fmac_f32_e32 v140, v51, v115
	;; [unrolled: 2-line block ×13, first 2 shown]
	ds_write2_b64 v102, v[70:71], v[139:140] offset1:39
	ds_write2_b64 v102, v[115:116], v[117:118] offset0:78 offset1:117
	ds_write2_b64 v102, v[119:120], v[121:122] offset0:156 offset1:195
	;; [unrolled: 1-line block ×5, first 2 shown]
	ds_write_b64 v102, v[133:134] offset:3744
	s_waitcnt lgkmcnt(0)
	s_barrier
	buffer_gl0_inv
	ds_read2_b64 v[61:64], v102 offset1:39
	ds_read_b64 v[44:45], v102 offset:3744
	ds_read2_b64 v[65:68], v102 offset0:78 offset1:117
	ds_read2_b64 v[111:114], v110 offset0:134 offset1:173
	;; [unrolled: 1-line block ×5, first 2 shown]
	s_waitcnt lgkmcnt(0)
	s_barrier
	buffer_gl0_inv
	v_add_f32_e32 v69, v61, v63
	v_add_f32_e32 v70, v62, v64
	;; [unrolled: 1-line block ×5, first 2 shown]
	v_sub_f32_e32 v118, v65, v113
	v_sub_f32_e32 v119, v66, v114
	v_add_f32_e32 v65, v69, v65
	v_add_f32_e32 v66, v70, v66
	;; [unrolled: 1-line block ×4, first 2 shown]
	v_sub_f32_e32 v126, v52, v58
	v_add_f32_e32 v65, v65, v67
	v_add_f32_e32 v66, v66, v68
	v_sub_f32_e32 v127, v53, v59
	v_sub_f32_e32 v64, v64, v45
	v_add_f32_e32 v71, v44, v63
	v_add_f32_e32 v52, v65, v52
	;; [unrolled: 1-line block ×3, first 2 shown]
	v_sub_f32_e32 v63, v63, v44
	v_mul_f32_e32 v69, 0xbeedf032, v64
	v_add_f32_e32 v120, v111, v67
	v_add_f32_e32 v52, v52, v54
	v_add_f32_e32 v53, v53, v55
	v_sub_f32_e32 v122, v67, v111
	v_sub_f32_e32 v123, v68, v112
	v_mul_f32_e32 v70, 0x3f62ad3f, v115
	v_add_f32_e32 v52, v52, v48
	v_add_f32_e32 v53, v53, v49
	v_mul_f32_e32 v128, 0xbf52af12, v64
	v_mul_f32_e32 v129, 0x3f116cb1, v115
	;; [unrolled: 1-line block ×3, first 2 shown]
	v_add_f32_e32 v52, v52, v50
	v_add_f32_e32 v53, v53, v51
	v_mul_f32_e32 v131, 0x3df6dbef, v115
	v_mul_f32_e32 v132, 0xbf6f5d39, v64
	;; [unrolled: 1-line block ×8, first 2 shown]
	v_fmamk_f32 v67, v71, 0x3f62ad3f, v69
	v_add_f32_e32 v52, v52, v56
	v_add_f32_e32 v53, v53, v57
	;; [unrolled: 1-line block ×3, first 2 shown]
	v_mul_f32_e32 v137, 0x3f116cb1, v117
	v_mul_f32_e32 v138, 0xbf6f5d39, v119
	;; [unrolled: 1-line block ×17, first 2 shown]
	v_fmamk_f32 v68, v63, 0x3eedf032, v70
	v_fma_f32 v69, 0x3f62ad3f, v71, -v69
	v_fmac_f32_e32 v70, 0xbeedf032, v63
	v_fmamk_f32 v158, v71, 0x3f116cb1, v128
	v_fmamk_f32 v159, v63, 0x3f52af12, v129
	v_fma_f32 v128, 0x3f116cb1, v71, -v128
	v_fmac_f32_e32 v129, 0xbf52af12, v63
	v_fmamk_f32 v160, v71, 0x3df6dbef, v130
	;; [unrolled: 4-line block ×6, first 2 shown]
	v_add_f32_e32 v65, v61, v67
	v_add_f32_e32 v52, v52, v58
	;; [unrolled: 1-line block ×3, first 2 shown]
	v_mul_f32_e32 v147, 0x3df6dbef, v121
	v_mul_f32_e32 v149, 0xbf788fa5, v121
	;; [unrolled: 1-line block ×7, first 2 shown]
	v_fmamk_f32 v71, v118, 0x3f52af12, v137
	v_fma_f32 v136, 0x3f116cb1, v116, -v136
	v_fmac_f32_e32 v137, 0xbf52af12, v118
	v_fmamk_f32 v168, v116, 0xbeb58ec6, v138
	v_fmamk_f32 v169, v118, 0x3f6f5d39, v139
	v_fma_f32 v138, 0xbeb58ec6, v116, -v138
	v_fmac_f32_e32 v139, 0xbf6f5d39, v118
	v_fmamk_f32 v170, v116, 0xbf788fa5, v140
	;; [unrolled: 4-line block ×6, first 2 shown]
	v_fma_f32 v146, 0x3df6dbef, v120, -v146
	v_fmamk_f32 v178, v120, 0xbf788fa5, v148
	v_fma_f32 v148, 0xbf788fa5, v120, -v148
	v_fmamk_f32 v180, v120, 0xbeb58ec6, v150
	;; [unrolled: 2-line block ×5, first 2 shown]
	v_fma_f32 v120, 0xbf3f9e67, v120, -v123
	v_add_f32_e32 v66, v62, v68
	v_add_f32_e32 v67, v61, v69
	;; [unrolled: 1-line block ×26, first 2 shown]
	v_mul_f32_e32 v157, 0xbeb58ec6, v125
	v_fmamk_f32 v119, v122, 0x3f7e222b, v147
	v_fmac_f32_e32 v147, 0xbf7e222b, v122
	v_fmamk_f32 v179, v122, 0x3e750f2a, v149
	v_fmac_f32_e32 v149, 0xbe750f2a, v122
	;; [unrolled: 2-line block ×6, first 2 shown]
	v_fmamk_f32 v122, v124, 0xbeb58ec6, v156
	v_add_f32_e32 v64, v71, v66
	v_add_f32_e32 v65, v136, v67
	;; [unrolled: 1-line block ×19, first 2 shown]
	v_fmamk_f32 v62, v126, 0x3f6f5d39, v157
	v_mul_f32_e32 v63, 0x3f29c268, v127
	v_fma_f32 v120, 0xbeb58ec6, v124, -v156
	v_mul_f32_e32 v121, 0xbf3f9e67, v125
	v_add_f32_e32 v71, v170, v129
	v_add_f32_e32 v67, v178, v67
	;; [unrolled: 1-line block ×6, first 2 shown]
	v_fmamk_f32 v64, v124, 0xbf3f9e67, v63
	v_add_f32_e32 v65, v120, v65
	v_fmamk_f32 v120, v126, 0xbf29c268, v121
	v_mul_f32_e32 v122, 0x3eedf032, v127
	v_fma_f32 v63, 0xbf3f9e67, v124, -v63
	v_fmac_f32_e32 v121, 0x3f29c268, v126
	v_add_f32_e32 v115, v171, v158
	v_add_f32_e32 v123, v140, v130
	;; [unrolled: 1-line block ×7, first 2 shown]
	v_fmamk_f32 v68, v124, 0x3f62ad3f, v122
	v_mul_f32_e32 v120, 0x3f62ad3f, v125
	v_add_f32_e32 v63, v63, v69
	v_add_f32_e32 v69, v121, v70
	v_mul_f32_e32 v70, 0xbf7e222b, v127
	v_add_f32_e32 v130, v173, v160
	v_add_f32_e32 v115, v181, v115
	;; [unrolled: 1-line block ×6, first 2 shown]
	v_fmamk_f32 v71, v126, 0xbeedf032, v120
	v_fma_f32 v121, 0x3f62ad3f, v124, -v122
	v_fmac_f32_e32 v120, 0x3eedf032, v126
	v_fmamk_f32 v122, v124, 0x3df6dbef, v70
	v_mul_f32_e32 v129, 0x3df6dbef, v125
	v_add_f32_e32 v131, v142, v132
	v_add_f32_e32 v132, v143, v133
	;; [unrolled: 1-line block ×8, first 2 shown]
	v_fmamk_f32 v118, v126, 0x3f7e222b, v129
	v_mul_f32_e32 v120, 0x3e750f2a, v127
	v_add_f32_e32 v134, v144, v134
	v_add_f32_e32 v111, v184, v133
	;; [unrolled: 1-line block ×4, first 2 shown]
	v_fmamk_f32 v118, v124, 0xbf788fa5, v120
	v_add_f32_e32 v135, v145, v135
	v_add_f32_e32 v59, v152, v131
	;; [unrolled: 1-line block ×3, first 2 shown]
	v_fma_f32 v70, 0x3df6dbef, v124, -v70
	v_mul_f32_e32 v121, 0xbf788fa5, v125
	v_add_f32_e32 v111, v118, v111
	v_fma_f32 v118, 0xbf788fa5, v124, -v120
	v_add_f32_e32 v137, v176, v163
	v_add_f32_e32 v112, v185, v136
	;; [unrolled: 1-line block ×4, first 2 shown]
	v_fmamk_f32 v70, v126, 0xbe750f2a, v121
	v_mul_f32_e32 v122, 0x3f52af12, v127
	v_fmac_f32_e32 v121, 0x3e750f2a, v126
	v_add_f32_e32 v118, v118, v123
	v_sub_f32_e32 v123, v55, v57
	v_add_f32_e32 v114, v186, v137
	v_add_f32_e32 v70, v70, v112
	v_fmamk_f32 v112, v124, 0x3f116cb1, v122
	v_mul_f32_e32 v120, 0x3f116cb1, v125
	v_add_f32_e32 v113, v121, v113
	v_add_f32_e32 v121, v56, v54
	v_mul_f32_e32 v125, 0xbf29c268, v123
	v_add_f32_e32 v55, v57, v55
	v_add_f32_e32 v66, v147, v66
	v_fmac_f32_e32 v157, 0xbf6f5d39, v126
	v_add_f32_e32 v112, v112, v114
	v_fmamk_f32 v114, v126, 0xbf52af12, v120
	v_fma_f32 v57, 0x3f116cb1, v124, -v122
	v_fmac_f32_e32 v120, 0x3f52af12, v126
	v_sub_f32_e32 v54, v54, v56
	v_fmamk_f32 v56, v121, 0xbf3f9e67, v125
	v_mul_f32_e32 v122, 0xbf3f9e67, v55
	v_add_f32_e32 v66, v157, v66
	v_add_f32_e32 v44, v57, v44
	;; [unrolled: 1-line block ×4, first 2 shown]
	v_fmamk_f32 v57, v54, 0x3f29c268, v122
	v_mul_f32_e32 v61, 0x3f7e222b, v123
	v_fma_f32 v120, 0xbf3f9e67, v121, -v125
	v_fmac_f32_e32 v122, 0xbf29c268, v54
	v_mul_f32_e32 v124, 0x3df6dbef, v55
	v_add_f32_e32 v57, v57, v62
	v_fmamk_f32 v62, v121, 0x3df6dbef, v61
	v_add_f32_e32 v65, v120, v65
	v_add_f32_e32 v66, v122, v66
	v_fmamk_f32 v120, v54, 0xbf7e222b, v124
	v_mul_f32_e32 v122, 0xbf52af12, v123
	v_fma_f32 v61, 0x3df6dbef, v121, -v61
	v_fmac_f32_e32 v124, 0x3f7e222b, v54
	v_add_f32_e32 v62, v62, v64
	v_add_f32_e32 v64, v120, v67
	v_fmamk_f32 v67, v121, 0x3f116cb1, v122
	v_mul_f32_e32 v120, 0x3f116cb1, v55
	v_add_f32_e32 v61, v61, v63
	v_add_f32_e32 v63, v124, v69
	v_mul_f32_e32 v69, 0x3e750f2a, v123
	v_add_f32_e32 v67, v67, v68
	v_fmamk_f32 v68, v54, 0x3f52af12, v120
	v_fma_f32 v122, 0x3f116cb1, v121, -v122
	v_fmac_f32_e32 v120, 0xbf52af12, v54
	v_fmamk_f32 v124, v121, 0xbf788fa5, v69
	v_mul_f32_e32 v125, 0xbf788fa5, v55
	v_add_f32_e32 v68, v68, v71
	v_add_f32_e32 v71, v122, v115
	;; [unrolled: 1-line block ×4, first 2 shown]
	v_fmamk_f32 v117, v54, 0xbe750f2a, v125
	v_mul_f32_e32 v120, 0x3eedf032, v123
	v_fma_f32 v69, 0xbf788fa5, v121, -v69
	v_mul_f32_e32 v122, 0x3f62ad3f, v55
	v_mul_f32_e32 v123, 0xbf6f5d39, v123
	v_add_f32_e32 v117, v117, v58
	v_fmamk_f32 v58, v121, 0x3f62ad3f, v120
	v_add_f32_e32 v69, v69, v59
	v_fmamk_f32 v59, v54, 0xbeedf032, v122
	v_add_f32_e32 v119, v153, v132
	v_fmac_f32_e32 v129, 0xbf7e222b, v126
	v_add_f32_e32 v111, v58, v111
	v_fma_f32 v58, 0x3f62ad3f, v121, -v120
	v_add_f32_e32 v70, v59, v70
	v_fmac_f32_e32 v122, 0x3eedf032, v54
	v_fmamk_f32 v59, v121, 0xbeb58ec6, v123
	v_mul_f32_e32 v55, 0xbeb58ec6, v55
	v_sub_f32_e32 v120, v49, v51
	v_add_f32_e32 v124, v51, v49
	v_add_f32_e32 v138, v177, v164
	;; [unrolled: 1-line block ×3, first 2 shown]
	v_fmac_f32_e32 v125, 0x3e750f2a, v54
	v_add_f32_e32 v118, v58, v118
	v_add_f32_e32 v113, v122, v113
	;; [unrolled: 1-line block ×3, first 2 shown]
	v_fmamk_f32 v58, v54, 0x3f6f5d39, v55
	v_add_f32_e32 v122, v50, v48
	v_mul_f32_e32 v59, 0xbe750f2a, v120
	v_fma_f32 v49, 0xbeb58ec6, v121, -v123
	v_fmac_f32_e32 v55, 0xbf6f5d39, v54
	v_sub_f32_e32 v121, v48, v50
	v_mul_f32_e32 v50, 0xbf788fa5, v124
	v_mul_f32_e32 v51, 0x3eedf032, v120
	v_add_f32_e32 v128, v187, v138
	v_add_f32_e32 v119, v125, v119
	v_fmamk_f32 v48, v122, 0xbf788fa5, v59
	v_add_f32_e32 v123, v49, v44
	v_add_f32_e32 v125, v55, v45
	v_fmamk_f32 v44, v121, 0x3e750f2a, v50
	v_fma_f32 v45, 0xbf788fa5, v122, -v59
	v_fmac_f32_e32 v50, 0xbe750f2a, v121
	v_mul_f32_e32 v55, 0x3f62ad3f, v124
	v_fmamk_f32 v54, v122, 0x3f62ad3f, v51
	v_add_f32_e32 v114, v114, v128
	v_add_f32_e32 v48, v48, v56
	;; [unrolled: 1-line block ×5, first 2 shown]
	v_fmamk_f32 v56, v121, 0xbeedf032, v55
	v_mul_f32_e32 v57, 0xbf29c268, v120
	v_add_f32_e32 v50, v54, v62
	v_fma_f32 v54, 0x3f62ad3f, v122, -v51
	v_fmac_f32_e32 v55, 0x3eedf032, v121
	v_mul_f32_e32 v59, 0xbf3f9e67, v124
	v_mul_f32_e32 v62, 0x3f52af12, v120
	v_add_f32_e32 v114, v58, v114
	v_add_f32_e32 v51, v56, v64
	;; [unrolled: 1-line block ×4, first 2 shown]
	v_fmamk_f32 v58, v121, 0x3f29c268, v59
	v_fma_f32 v61, 0xbf3f9e67, v122, -v57
	v_fmamk_f32 v63, v122, 0x3f116cb1, v62
	v_mul_f32_e32 v64, 0x3f116cb1, v124
	v_fmamk_f32 v56, v122, 0xbf3f9e67, v57
	v_fmac_f32_e32 v59, 0xbf29c268, v121
	v_add_f32_e32 v57, v58, v68
	v_add_f32_e32 v58, v61, v71
	v_add_f32_e32 v61, v63, v116
	v_fmamk_f32 v63, v121, 0xbf52af12, v64
	v_mul_f32_e32 v65, 0xbf6f5d39, v120
	v_fma_f32 v66, 0x3f116cb1, v122, -v62
	v_mul_f32_e32 v68, 0xbeb58ec6, v124
	v_add_f32_e32 v56, v56, v67
	v_add_f32_e32 v59, v59, v115
	;; [unrolled: 1-line block ×3, first 2 shown]
	v_fmamk_f32 v67, v122, 0xbeb58ec6, v65
	v_add_f32_e32 v63, v66, v69
	v_fmamk_f32 v66, v121, 0x3f6f5d39, v68
	v_fma_f32 v69, 0xbeb58ec6, v122, -v65
	v_mul_f32_e32 v71, 0x3f7e222b, v120
	v_mul_f32_e32 v115, 0x3df6dbef, v124
	v_add_f32_e32 v65, v67, v111
	v_add_f32_e32 v66, v66, v70
	;; [unrolled: 1-line block ×3, first 2 shown]
	v_fmamk_f32 v69, v122, 0x3df6dbef, v71
	v_fmamk_f32 v70, v121, 0xbf7e222b, v115
	v_fma_f32 v71, 0x3df6dbef, v122, -v71
	v_fmac_f32_e32 v115, 0x3f7e222b, v121
	v_fmac_f32_e32 v64, 0x3f52af12, v121
	;; [unrolled: 1-line block ×3, first 2 shown]
	v_add_f32_e32 v69, v69, v112
	v_add_f32_e32 v70, v70, v114
	;; [unrolled: 1-line block ×6, first 2 shown]
	ds_write2_b64 v60, v[52:53], v[48:49] offset1:1
	ds_write2_b64 v60, v[50:51], v[56:57] offset0:2 offset1:3
	ds_write2_b64 v60, v[61:62], v[65:66] offset0:4 offset1:5
	;; [unrolled: 1-line block ×5, first 2 shown]
	ds_write_b64 v60, v[44:45] offset:96
	s_waitcnt lgkmcnt(0)
	s_barrier
	buffer_gl0_inv
	ds_read2_b64 v[52:55], v102 offset1:39
	ds_read2_b64 v[68:71], v102 offset0:169 offset1:208
	ds_read2_b64 v[64:67], v110 offset0:82 offset1:121
	ds_read2_b64 v[48:51], v102 offset0:78 offset1:117
	ds_read2_b64 v[60:63], v109 offset0:119 offset1:158
	ds_read2_b64 v[56:59], v110 offset0:160 offset1:199
	s_and_saveexec_b32 s0, vcc_lo
	s_cbranch_execz .LBB0_7
; %bb.6:
	ds_read2_b64 v[44:47], v109 offset0:28 offset1:197
	ds_read_b64 v[99:100], v102 offset:3952
.LBB0_7:
	s_or_b32 exec_lo, exec_lo, s0
	s_waitcnt lgkmcnt(3)
	v_mul_f32_e32 v110, v31, v65
	v_mul_f32_e32 v31, v31, v64
	;; [unrolled: 1-line block ×4, first 2 shown]
	s_waitcnt lgkmcnt(0)
	v_fmac_f32_e32 v110, v30, v64
	v_fma_f32 v30, v30, v65, -v31
	v_mul_f32_e32 v64, v13, v61
	v_mul_f32_e32 v65, v15, v57
	v_mul_f32_e32 v15, v15, v56
	v_fmac_f32_e32 v109, v28, v68
	v_fma_f32 v28, v28, v69, -v29
	v_mul_f32_e32 v29, v25, v71
	v_mul_f32_e32 v25, v25, v70
	;; [unrolled: 1-line block ×5, first 2 shown]
	v_fmac_f32_e32 v64, v12, v60
	v_mul_f32_e32 v60, v5, v63
	v_fmac_f32_e32 v65, v14, v56
	v_mul_f32_e32 v5, v5, v62
	v_fma_f32 v56, v14, v57, -v15
	v_mul_f32_e32 v57, v7, v59
	v_mul_f32_e32 v7, v7, v58
	v_fmac_f32_e32 v29, v24, v70
	v_fma_f32 v24, v24, v71, -v25
	v_fma_f32 v25, v26, v67, -v27
	;; [unrolled: 1-line block ×3, first 2 shown]
	v_fmac_f32_e32 v60, v4, v62
	v_fma_f32 v61, v4, v63, -v5
	v_add_f32_e32 v4, v109, v110
	v_fmac_f32_e32 v57, v6, v58
	v_add_f32_e32 v5, v52, v109
	v_fma_f32 v58, v6, v59, -v7
	v_add_f32_e32 v7, v28, v30
	v_fmac_f32_e32 v31, v26, v66
	v_fma_f32 v4, -0.5, v4, v52
	v_sub_f32_e32 v13, v28, v30
	v_add_f32_e32 v6, v5, v110
	v_add_f32_e32 v14, v53, v28
	v_fma_f32 v5, -0.5, v7, v53
	v_sub_f32_e32 v15, v109, v110
	v_fmamk_f32 v12, v13, 0xbf5db3d7, v4
	v_fmac_f32_e32 v4, 0x3f5db3d7, v13
	v_add_f32_e32 v7, v14, v30
	v_add_f32_e32 v14, v29, v31
	v_fmamk_f32 v13, v15, 0x3f5db3d7, v5
	v_add_f32_e32 v26, v54, v29
	v_fmac_f32_e32 v5, 0xbf5db3d7, v15
	v_add_f32_e32 v15, v24, v25
	v_fma_f32 v54, -0.5, v14, v54
	v_sub_f32_e32 v29, v29, v31
	v_add_f32_e32 v14, v26, v31
	v_add_f32_e32 v26, v55, v24
	v_fmac_f32_e32 v55, -0.5, v15
	v_sub_f32_e32 v28, v24, v25
	v_sub_f32_e32 v31, v27, v56
	v_add_f32_e32 v52, v50, v60
	v_add_f32_e32 v15, v26, v25
	;; [unrolled: 1-line block ×3, first 2 shown]
	v_fmamk_f32 v25, v29, 0x3f5db3d7, v55
	v_fmac_f32_e32 v55, 0xbf5db3d7, v29
	v_add_f32_e32 v29, v27, v56
	v_fmamk_f32 v24, v28, 0xbf5db3d7, v54
	v_fmac_f32_e32 v54, 0x3f5db3d7, v28
	v_add_f32_e32 v28, v48, v64
	v_fma_f32 v26, -0.5, v26, v48
	v_add_f32_e32 v48, v49, v27
	v_fma_f32 v27, -0.5, v29, v49
	v_sub_f32_e32 v49, v64, v65
	v_sub_f32_e32 v53, v61, v58
	v_fmamk_f32 v30, v31, 0xbf5db3d7, v26
	v_fmac_f32_e32 v26, 0x3f5db3d7, v31
	v_add_f32_e32 v29, v48, v56
	v_add_f32_e32 v48, v60, v57
	v_fmamk_f32 v31, v49, 0x3f5db3d7, v27
	v_fmac_f32_e32 v27, 0xbf5db3d7, v49
	v_add_f32_e32 v49, v61, v58
	v_add_f32_e32 v56, v51, v61
	v_fma_f32 v50, -0.5, v48, v50
	v_sub_f32_e32 v59, v60, v57
	v_add_f32_e32 v28, v28, v65
	v_fmac_f32_e32 v51, -0.5, v49
	v_add_f32_e32 v48, v52, v57
	v_fmamk_f32 v52, v53, 0xbf5db3d7, v50
	v_fmac_f32_e32 v50, 0x3f5db3d7, v53
	v_add_f32_e32 v49, v56, v58
	v_fmamk_f32 v53, v59, 0x3f5db3d7, v51
	v_fmac_f32_e32 v51, 0xbf5db3d7, v59
	s_barrier
	buffer_gl0_inv
	ds_write2_b64 v107, v[6:7], v[12:13] offset1:13
	ds_write_b64 v107, v[4:5] offset:208
	ds_write2_b64 v106, v[14:15], v[24:25] offset1:13
	ds_write_b64 v106, v[54:55] offset:208
	ds_write2_b64 v105, v[28:29], v[30:31] offset1:13
	ds_write_b64 v105, v[26:27] offset:208
	ds_write2_b64 v104, v[48:49], v[52:53] offset1:13
	ds_write_b64 v104, v[50:51] offset:208
	s_and_saveexec_b32 s0, vcc_lo
	s_cbranch_execz .LBB0_9
; %bb.8:
	v_mul_f32_e32 v4, v1, v46
	v_mul_f32_e32 v5, v3, v99
	;; [unrolled: 1-line block ×4, first 2 shown]
	v_lshl_add_u32 v12, v108, 3, v103
	v_fma_f32 v3, v0, v47, -v4
	v_fma_f32 v4, v2, v100, -v5
	v_fmac_f32_e32 v6, v0, v46
	v_fmac_f32_e32 v7, v2, v99
	v_add_f32_e32 v5, v45, v3
	v_add_f32_e32 v0, v3, v4
	v_sub_f32_e32 v14, v3, v4
	v_add_f32_e32 v2, v6, v7
	v_sub_f32_e32 v13, v6, v7
	v_add_f32_e32 v3, v5, v4
	v_fma_f32 v1, -0.5, v0, v45
	v_fma_f32 v0, -0.5, v2, v44
	v_add_f32_e32 v2, v44, v6
	v_add_nc_u32_e32 v6, 0x800, v12
	v_fmamk_f32 v5, v13, 0xbf5db3d7, v1
	v_fmac_f32_e32 v1, 0x3f5db3d7, v13
	v_fmamk_f32 v4, v14, 0x3f5db3d7, v0
	v_add_f32_e32 v2, v2, v7
	v_fmac_f32_e32 v0, 0xbf5db3d7, v14
	ds_write2_b64 v6, v[2:3], v[0:1] offset0:212 offset1:225
	ds_write_b64 v12, v[4:5] offset:3952
.LBB0_9:
	s_or_b32 exec_lo, exec_lo, s0
	s_waitcnt lgkmcnt(0)
	s_barrier
	buffer_gl0_inv
	ds_read2_b64 v[24:27], v102 offset1:39
	ds_read2_b64 v[4:7], v102 offset0:78 offset1:117
	ds_read2_b64 v[28:31], v102 offset0:156 offset1:195
	v_add_nc_u32_e32 v3, 0x400, v102
	v_add_nc_u32_e32 v2, 0x800, v102
	ds_read_b64 v[0:1], v102 offset:3744
	ds_read2_b64 v[44:47], v3 offset0:106 offset1:145
	ds_read2_b64 v[48:51], v2 offset0:56 offset1:95
	;; [unrolled: 1-line block ×3, first 2 shown]
	s_mov_b32 s0, 0xfc7729e9
	s_mov_b32 s1, 0x3f602864
	s_mul_i32 s2, s9, 0x138
	s_mul_hi_u32 s3, s8, 0x138
	s_add_i32 s2, s3, s2
	s_mul_i32 s3, s8, 0x138
	s_waitcnt lgkmcnt(6)
	v_mul_f32_e32 v14, v41, v27
	v_mul_f32_e32 v13, v41, v26
	s_waitcnt lgkmcnt(5)
	v_mul_f32_e32 v41, v43, v4
	v_mul_f32_e32 v15, v43, v5
	;; [unrolled: 1-line block ×4, first 2 shown]
	s_waitcnt lgkmcnt(4)
	v_mul_f32_e32 v12, v21, v31
	v_fmac_f32_e32 v14, v40, v26
	v_fma_f32 v26, v40, v27, -v13
	v_fma_f32 v27, v42, v5, -v41
	v_mul_f32_e32 v5, v21, v30
	v_fmac_f32_e32 v15, v42, v4
	v_fmac_f32_e32 v43, v36, v6
	v_fma_f32 v36, v36, v7, -v37
	v_fmac_f32_e32 v12, v20, v30
	v_fma_f32 v13, v20, v31, -v5
	v_add_f32_e32 v7, v24, v14
	v_add_f32_e32 v20, v25, v26
	v_mul_f32_e32 v56, v39, v29
	v_mul_f32_e32 v39, v39, v28
	s_waitcnt lgkmcnt(2)
	v_mul_f32_e32 v4, v23, v45
	v_add_f32_e32 v7, v7, v15
	v_add_f32_e32 v20, v20, v27
	v_fmac_f32_e32 v56, v38, v28
	v_fma_f32 v21, v38, v29, -v39
	v_mul_f32_e32 v6, v23, v44
	v_mul_f32_e32 v5, v9, v47
	;; [unrolled: 1-line block ×3, first 2 shown]
	v_add_f32_e32 v23, v7, v43
	v_add_f32_e32 v20, v20, v36
	v_fmac_f32_e32 v4, v22, v44
	v_fma_f32 v6, v22, v45, -v6
	v_fmac_f32_e32 v5, v8, v46
	s_waitcnt lgkmcnt(1)
	v_mul_f32_e32 v22, v11, v49
	v_fma_f32 v7, v8, v47, -v9
	v_mul_f32_e32 v8, v11, v48
	v_add_f32_e32 v9, v23, v56
	v_add_f32_e32 v11, v20, v21
	v_fmac_f32_e32 v22, v10, v48
	v_mul_f32_e32 v20, v33, v51
	v_fma_f32 v8, v10, v49, -v8
	v_add_f32_e32 v9, v9, v12
	v_add_f32_e32 v11, v11, v13
	v_mul_f32_e32 v10, v33, v50
	v_mul_f32_e32 v30, v19, v0
	v_fmac_f32_e32 v20, v32, v50
	v_add_f32_e32 v9, v9, v4
	v_add_f32_e32 v11, v11, v6
	s_waitcnt lgkmcnt(0)
	v_mul_f32_e32 v23, v35, v53
	v_fma_f32 v10, v32, v51, -v10
	v_mul_f32_e32 v28, v35, v52
	v_add_f32_e32 v9, v9, v5
	v_add_f32_e32 v11, v11, v7
	v_mul_f32_e32 v19, v19, v1
	v_fma_f32 v1, v18, v1, -v30
	v_fmac_f32_e32 v23, v34, v52
	v_add_f32_e32 v9, v9, v22
	v_add_f32_e32 v11, v11, v8
	v_mul_f32_e32 v29, v17, v55
	v_fma_f32 v28, v34, v53, -v28
	v_mul_f32_e32 v17, v17, v54
	v_add_f32_e32 v9, v9, v20
	v_add_f32_e32 v11, v11, v10
	v_fmac_f32_e32 v19, v18, v0
	v_sub_f32_e32 v18, v26, v1
	v_fmac_f32_e32 v29, v16, v54
	v_fma_f32 v16, v16, v55, -v17
	v_add_f32_e32 v0, v9, v23
	v_add_f32_e32 v9, v11, v28
	;; [unrolled: 1-line block ×3, first 2 shown]
	v_mul_f32_e32 v17, 0xbeedf032, v18
	v_add_f32_e32 v26, v26, v1
	v_sub_f32_e32 v50, v27, v16
	v_add_f32_e32 v9, v9, v16
	v_add_f32_e32 v0, v0, v29
	v_fmamk_f32 v30, v11, 0x3f62ad3f, v17
	v_sub_f32_e32 v14, v14, v19
	v_mul_f32_e32 v31, 0x3f62ad3f, v26
	v_add_f32_e32 v1, v9, v1
	v_mul_f32_e32 v32, 0x3f116cb1, v26
	v_add_f32_e32 v9, v24, v30
	v_mul_f32_e32 v30, 0xbf52af12, v18
	v_mul_f32_e32 v35, 0xbf7e222b, v18
	;; [unrolled: 1-line block ×9, first 2 shown]
	v_add_f32_e32 v52, v15, v29
	v_mul_f32_e32 v53, 0xbf52af12, v50
	v_add_f32_e32 v16, v27, v16
	v_add_f32_e32 v0, v0, v19
	v_fmamk_f32 v19, v14, 0x3eedf032, v31
	v_fma_f32 v17, 0x3f62ad3f, v11, -v17
	v_fmac_f32_e32 v31, 0xbeedf032, v14
	v_fmamk_f32 v33, v11, 0x3f116cb1, v30
	v_fmamk_f32 v34, v14, 0x3f52af12, v32
	v_fma_f32 v30, 0x3f116cb1, v11, -v30
	v_fmac_f32_e32 v32, 0xbf52af12, v14
	v_fmamk_f32 v37, v11, 0x3df6dbef, v35
	;; [unrolled: 4-line block ×5, first 2 shown]
	v_fmamk_f32 v51, v14, 0x3e750f2a, v26
	v_fma_f32 v11, 0xbf788fa5, v11, -v18
	v_fmac_f32_e32 v26, 0xbe750f2a, v14
	v_sub_f32_e32 v14, v15, v29
	v_fmamk_f32 v15, v52, 0x3f116cb1, v53
	v_mul_f32_e32 v18, 0x3f116cb1, v16
	v_add_f32_e32 v19, v25, v19
	v_add_f32_e32 v17, v24, v17
	;; [unrolled: 1-line block ×24, first 2 shown]
	v_fmamk_f32 v15, v14, 0x3f52af12, v18
	v_mul_f32_e32 v25, 0xbf6f5d39, v50
	v_fma_f32 v26, 0x3f116cb1, v52, -v53
	v_fmac_f32_e32 v18, 0xbf52af12, v14
	v_mul_f32_e32 v29, 0xbeb58ec6, v16
	v_add_f32_e32 v15, v15, v19
	v_fmamk_f32 v19, v52, 0xbeb58ec6, v25
	v_add_f32_e32 v17, v26, v17
	v_add_f32_e32 v18, v18, v31
	v_fmamk_f32 v26, v14, 0x3f6f5d39, v29
	v_mul_f32_e32 v31, 0xbe750f2a, v50
	v_fma_f32 v25, 0xbeb58ec6, v52, -v25
	v_add_f32_e32 v19, v19, v33
	v_fmac_f32_e32 v29, 0xbf6f5d39, v14
	v_add_f32_e32 v26, v26, v34
	v_fmamk_f32 v33, v52, 0xbf788fa5, v31
	v_mul_f32_e32 v34, 0xbf788fa5, v16
	v_add_f32_e32 v25, v25, v30
	v_mul_f32_e32 v30, 0x3f29c268, v50
	v_add_f32_e32 v29, v29, v32
	v_add_f32_e32 v32, v33, v37
	v_fmamk_f32 v33, v14, 0x3e750f2a, v34
	v_fma_f32 v31, 0xbf788fa5, v52, -v31
	v_fmac_f32_e32 v34, 0xbe750f2a, v14
	v_fmamk_f32 v37, v52, 0xbf3f9e67, v30
	v_mul_f32_e32 v51, 0xbf3f9e67, v16
	v_add_f32_e32 v33, v33, v40
	v_add_f32_e32 v31, v31, v35
	;; [unrolled: 1-line block ×4, first 2 shown]
	v_fmamk_f32 v37, v14, 0xbf29c268, v51
	v_mul_f32_e32 v38, 0x3f7e222b, v50
	v_fma_f32 v30, 0xbf3f9e67, v52, -v30
	v_mul_f32_e32 v40, 0x3df6dbef, v16
	v_mul_f32_e32 v16, 0x3f62ad3f, v16
	v_add_f32_e32 v37, v37, v44
	v_fmamk_f32 v41, v52, 0x3df6dbef, v38
	v_mul_f32_e32 v44, 0x3eedf032, v50
	v_fma_f32 v38, 0x3df6dbef, v52, -v38
	v_add_f32_e32 v30, v30, v39
	v_fmamk_f32 v39, v14, 0xbf7e222b, v40
	v_add_f32_e32 v41, v41, v47
	v_fmac_f32_e32 v40, 0x3f7e222b, v14
	v_fmamk_f32 v47, v52, 0x3f62ad3f, v44
	v_add_f32_e32 v38, v38, v45
	v_sub_f32_e32 v45, v36, v28
	v_add_f32_e32 v39, v39, v48
	v_add_f32_e32 v40, v40, v46
	;; [unrolled: 1-line block ×4, first 2 shown]
	v_mul_f32_e32 v49, 0xbf7e222b, v45
	v_add_f32_e32 v28, v36, v28
	v_fmac_f32_e32 v51, 0x3f29c268, v14
	v_fmamk_f32 v47, v14, 0xbeedf032, v16
	v_fmac_f32_e32 v16, 0x3eedf032, v14
	v_sub_f32_e32 v14, v43, v23
	v_fmamk_f32 v23, v48, 0x3df6dbef, v49
	v_mul_f32_e32 v43, 0x3df6dbef, v28
	v_fma_f32 v36, 0x3f62ad3f, v52, -v44
	v_add_f32_e32 v16, v16, v24
	v_mul_f32_e32 v24, 0xbe750f2a, v45
	v_add_f32_e32 v9, v23, v9
	v_fmamk_f32 v23, v14, 0x3f7e222b, v43
	v_add_f32_e32 v11, v36, v11
	v_fma_f32 v36, 0x3df6dbef, v48, -v49
	v_fmac_f32_e32 v43, 0xbf7e222b, v14
	v_mul_f32_e32 v44, 0xbf788fa5, v28
	v_add_f32_e32 v15, v23, v15
	v_fmamk_f32 v23, v48, 0xbf788fa5, v24
	v_add_f32_e32 v17, v36, v17
	v_add_f32_e32 v18, v43, v18
	v_fmamk_f32 v36, v14, 0x3e750f2a, v44
	v_mul_f32_e32 v43, 0x3f6f5d39, v45
	v_add_f32_e32 v19, v23, v19
	v_fma_f32 v23, 0xbf788fa5, v48, -v24
	v_fmac_f32_e32 v44, 0xbe750f2a, v14
	v_add_f32_e32 v24, v36, v26
	v_fmamk_f32 v26, v48, 0xbeb58ec6, v43
	v_mul_f32_e32 v36, 0xbeb58ec6, v28
	v_add_f32_e32 v23, v23, v25
	v_add_f32_e32 v25, v44, v29
	v_mul_f32_e32 v29, 0x3eedf032, v45
	v_add_f32_e32 v27, v47, v27
	v_add_f32_e32 v26, v26, v32
	v_fmamk_f32 v32, v14, 0xbf6f5d39, v36
	v_fmac_f32_e32 v36, 0x3f6f5d39, v14
	v_fmamk_f32 v44, v48, 0x3f62ad3f, v29
	v_mul_f32_e32 v47, 0x3f62ad3f, v28
	v_fma_f32 v43, 0xbeb58ec6, v48, -v43
	v_add_f32_e32 v32, v32, v33
	v_add_f32_e32 v33, v36, v34
	;; [unrolled: 1-line block ×3, first 2 shown]
	v_fmamk_f32 v35, v14, 0xbeedf032, v47
	v_mul_f32_e32 v36, 0xbf52af12, v45
	v_add_f32_e32 v31, v43, v31
	v_fma_f32 v29, 0x3f62ad3f, v48, -v29
	v_mul_f32_e32 v43, 0x3f116cb1, v28
	v_add_f32_e32 v35, v35, v37
	v_fmamk_f32 v37, v48, 0x3f116cb1, v36
	v_fma_f32 v36, 0x3f116cb1, v48, -v36
	v_add_f32_e32 v29, v29, v30
	v_fmamk_f32 v30, v14, 0x3f52af12, v43
	v_fmac_f32_e32 v43, 0xbf52af12, v14
	v_mul_f32_e32 v44, 0xbf29c268, v45
	v_add_f32_e32 v36, v36, v38
	v_sub_f32_e32 v38, v21, v10
	v_mul_f32_e32 v28, 0xbf3f9e67, v28
	v_add_f32_e32 v40, v43, v40
	v_add_f32_e32 v43, v56, v20
	;; [unrolled: 1-line block ×3, first 2 shown]
	v_mul_f32_e32 v45, 0xbf6f5d39, v38
	v_fmac_f32_e32 v47, 0x3eedf032, v14
	v_add_f32_e32 v37, v37, v41
	v_add_f32_e32 v30, v30, v39
	v_fmamk_f32 v39, v48, 0xbf3f9e67, v44
	v_fmamk_f32 v41, v14, 0x3f29c268, v28
	v_fma_f32 v21, 0xbf3f9e67, v48, -v44
	v_fmac_f32_e32 v28, 0xbf29c268, v14
	v_sub_f32_e32 v14, v56, v20
	v_fmamk_f32 v20, v43, 0xbeb58ec6, v45
	v_mul_f32_e32 v44, 0xbeb58ec6, v10
	v_add_f32_e32 v11, v21, v11
	v_mul_f32_e32 v21, 0x3f29c268, v38
	v_add_f32_e32 v27, v41, v27
	v_add_f32_e32 v9, v20, v9
	v_fmamk_f32 v20, v14, 0x3f6f5d39, v44
	v_add_f32_e32 v16, v28, v16
	v_fma_f32 v28, 0xbeb58ec6, v43, -v45
	v_fmac_f32_e32 v44, 0xbf6f5d39, v14
	v_mul_f32_e32 v41, 0xbf3f9e67, v10
	v_add_f32_e32 v15, v20, v15
	v_fmamk_f32 v20, v43, 0xbf3f9e67, v21
	v_add_f32_e32 v17, v28, v17
	v_add_f32_e32 v18, v44, v18
	v_fmamk_f32 v28, v14, 0xbf29c268, v41
	v_mul_f32_e32 v44, 0x3eedf032, v38
	v_add_f32_e32 v19, v20, v19
	v_fma_f32 v20, 0xbf3f9e67, v43, -v21
	v_fmac_f32_e32 v41, 0x3f29c268, v14
	v_add_f32_e32 v21, v28, v24
	v_fmamk_f32 v24, v43, 0x3f62ad3f, v44
	v_mul_f32_e32 v28, 0x3f62ad3f, v10
	v_add_f32_e32 v20, v20, v23
	v_add_f32_e32 v23, v41, v25
	v_mul_f32_e32 v25, 0xbf7e222b, v38
	v_add_f32_e32 v24, v24, v26
	v_fmamk_f32 v26, v14, 0xbeedf032, v28
	v_fma_f32 v41, 0x3f62ad3f, v43, -v44
	v_fmac_f32_e32 v28, 0x3eedf032, v14
	v_fmamk_f32 v44, v43, 0x3df6dbef, v25
	v_mul_f32_e32 v45, 0x3df6dbef, v10
	v_add_f32_e32 v26, v26, v32
	v_add_f32_e32 v31, v41, v31
	;; [unrolled: 1-line block ×4, first 2 shown]
	v_fmamk_f32 v33, v14, 0x3f7e222b, v45
	v_mul_f32_e32 v34, 0x3e750f2a, v38
	v_fma_f32 v25, 0x3df6dbef, v43, -v25
	v_mul_f32_e32 v41, 0xbf788fa5, v10
	v_mul_f32_e32 v38, 0x3f52af12, v38
	v_add_f32_e32 v33, v33, v35
	v_fmamk_f32 v35, v43, 0xbf788fa5, v34
	v_fma_f32 v34, 0xbf788fa5, v43, -v34
	v_add_f32_e32 v25, v25, v29
	v_fmamk_f32 v29, v14, 0xbe750f2a, v41
	v_fmac_f32_e32 v41, 0x3e750f2a, v14
	v_add_f32_e32 v39, v39, v46
	v_add_f32_e32 v34, v34, v36
	v_sub_f32_e32 v36, v13, v8
	v_add_f32_e32 v35, v35, v37
	v_add_f32_e32 v29, v29, v30
	v_fmamk_f32 v30, v43, 0x3f116cb1, v38
	v_mul_f32_e32 v10, 0x3f116cb1, v10
	v_add_f32_e32 v37, v41, v40
	v_add_f32_e32 v40, v12, v22
	v_mul_f32_e32 v41, 0xbf29c268, v36
	v_add_f32_e32 v8, v13, v8
	v_fmac_f32_e32 v45, 0xbf7e222b, v14
	v_add_f32_e32 v30, v30, v39
	v_fmamk_f32 v39, v14, 0xbf52af12, v10
	v_fma_f32 v13, 0x3f116cb1, v43, -v38
	v_fmac_f32_e32 v10, 0x3f52af12, v14
	v_sub_f32_e32 v12, v12, v22
	v_fmamk_f32 v14, v40, 0xbf3f9e67, v41
	v_mul_f32_e32 v22, 0xbf3f9e67, v8
	v_add_f32_e32 v11, v13, v11
	v_add_f32_e32 v10, v10, v16
	v_fma_f32 v16, 0xbf3f9e67, v40, -v41
	v_add_f32_e32 v9, v14, v9
	v_fmamk_f32 v13, v12, 0x3f29c268, v22
	v_mul_f32_e32 v14, 0x3f7e222b, v36
	v_fmac_f32_e32 v22, 0xbf29c268, v12
	v_mul_f32_e32 v38, 0x3df6dbef, v8
	v_add_f32_e32 v16, v16, v17
	v_add_f32_e32 v13, v13, v15
	v_fmamk_f32 v15, v40, 0x3df6dbef, v14
	v_add_f32_e32 v17, v22, v18
	v_fmamk_f32 v18, v12, 0xbf7e222b, v38
	v_mul_f32_e32 v22, 0xbf52af12, v36
	v_fma_f32 v14, 0x3df6dbef, v40, -v14
	v_add_f32_e32 v15, v15, v19
	v_fmac_f32_e32 v38, 0x3f7e222b, v12
	v_add_f32_e32 v18, v18, v21
	v_fmamk_f32 v19, v40, 0x3f116cb1, v22
	v_mul_f32_e32 v21, 0x3f116cb1, v8
	v_add_f32_e32 v27, v39, v27
	v_add_f32_e32 v14, v14, v20
	;; [unrolled: 1-line block ×3, first 2 shown]
	v_mul_f32_e32 v23, 0x3e750f2a, v36
	v_add_f32_e32 v19, v19, v24
	v_fmamk_f32 v24, v12, 0x3f52af12, v21
	v_fma_f32 v22, 0x3f116cb1, v40, -v22
	v_fmac_f32_e32 v21, 0xbf52af12, v12
	v_mul_f32_e32 v39, 0xbf788fa5, v8
	v_add_f32_e32 v42, v51, v42
	v_fmamk_f32 v38, v40, 0xbf788fa5, v23
	v_add_f32_e32 v22, v22, v31
	v_add_f32_e32 v21, v21, v28
	v_fmamk_f32 v28, v12, 0xbe750f2a, v39
	v_mul_f32_e32 v31, 0x3eedf032, v36
	v_add_f32_e32 v42, v47, v42
	v_add_f32_e32 v24, v24, v26
	;; [unrolled: 1-line block ×3, first 2 shown]
	v_fma_f32 v23, 0xbf788fa5, v40, -v23
	v_mul_f32_e32 v32, 0x3f62ad3f, v8
	v_add_f32_e32 v28, v28, v33
	v_fmamk_f32 v33, v40, 0x3f62ad3f, v31
	v_fma_f32 v31, 0x3f62ad3f, v40, -v31
	v_add_f32_e32 v42, v45, v42
	v_fmac_f32_e32 v39, 0x3e750f2a, v12
	v_add_f32_e32 v23, v23, v25
	v_fmamk_f32 v25, v12, 0xbeedf032, v32
	v_fmac_f32_e32 v32, 0x3eedf032, v12
	v_add_f32_e32 v31, v31, v34
	v_sub_f32_e32 v34, v6, v7
	v_add_f32_e32 v38, v39, v42
	v_mul_f32_e32 v36, 0xbf6f5d39, v36
	v_add_f32_e32 v33, v33, v35
	v_add_f32_e32 v32, v32, v37
	;; [unrolled: 1-line block ×3, first 2 shown]
	v_mul_f32_e32 v37, 0xbe750f2a, v34
	v_add_f32_e32 v39, v6, v7
	v_add_f32_e32 v25, v25, v29
	v_fmamk_f32 v29, v40, 0xbeb58ec6, v36
	v_mul_f32_e32 v8, 0xbeb58ec6, v8
	v_fma_f32 v6, 0xbeb58ec6, v40, -v36
	v_sub_f32_e32 v36, v4, v5
	v_fmamk_f32 v4, v35, 0xbf788fa5, v37
	v_mul_f32_e32 v7, 0xbf788fa5, v39
	v_add_f32_e32 v29, v29, v30
	v_fmamk_f32 v30, v12, 0x3f6f5d39, v8
	v_fmac_f32_e32 v8, 0xbf6f5d39, v12
	v_add_f32_e32 v4, v4, v9
	v_fmamk_f32 v5, v36, 0x3e750f2a, v7
	v_mul_f32_e32 v9, 0x3eedf032, v34
	v_add_f32_e32 v27, v30, v27
	v_add_f32_e32 v30, v6, v11
	;; [unrolled: 1-line block ×3, first 2 shown]
	v_fma_f32 v6, 0xbf788fa5, v35, -v37
	v_fmac_f32_e32 v7, 0xbe750f2a, v36
	v_mul_f32_e32 v11, 0x3f62ad3f, v39
	v_add_f32_e32 v5, v5, v13
	v_fmamk_f32 v8, v35, 0x3f62ad3f, v9
	v_mul_f32_e32 v13, 0xbf29c268, v34
	v_add_f32_e32 v6, v6, v16
	v_add_f32_e32 v7, v7, v17
	v_fmamk_f32 v10, v36, 0xbeedf032, v11
	v_add_f32_e32 v8, v8, v15
	v_fma_f32 v12, 0x3f62ad3f, v35, -v9
	v_fmamk_f32 v15, v35, 0xbf3f9e67, v13
	v_mul_f32_e32 v16, 0xbf3f9e67, v39
	v_mul_f32_e32 v17, 0x3f52af12, v34
	v_fmac_f32_e32 v11, 0x3eedf032, v36
	v_add_f32_e32 v9, v10, v18
	v_add_f32_e32 v10, v12, v14
	;; [unrolled: 1-line block ×3, first 2 shown]
	v_fmamk_f32 v14, v36, 0x3f29c268, v16
	v_fma_f32 v15, 0xbf3f9e67, v35, -v13
	v_fmac_f32_e32 v16, 0xbf29c268, v36
	v_fmamk_f32 v18, v35, 0x3f116cb1, v17
	v_mul_f32_e32 v19, 0x3f116cb1, v39
	v_add_f32_e32 v11, v11, v20
	v_add_f32_e32 v13, v14, v24
	;; [unrolled: 1-line block ×5, first 2 shown]
	v_fmamk_f32 v18, v36, 0xbf52af12, v19
	v_fma_f32 v20, 0x3f116cb1, v35, -v17
	v_mul_f32_e32 v21, 0xbf6f5d39, v34
	v_mul_f32_e32 v37, 0xbeb58ec6, v39
	;; [unrolled: 1-line block ×3, first 2 shown]
	v_add_f32_e32 v17, v18, v28
	v_add_f32_e32 v18, v20, v23
	v_fma_f32 v23, 0xbeb58ec6, v35, -v21
	v_fmamk_f32 v22, v36, 0x3f6f5d39, v37
	v_mul_f32_e32 v28, 0x3df6dbef, v39
	v_fmamk_f32 v20, v35, 0xbeb58ec6, v21
	v_fma_f32 v26, 0x3df6dbef, v35, -v24
	v_fmac_f32_e32 v19, 0x3f52af12, v36
	v_add_f32_e32 v21, v22, v25
	v_add_f32_e32 v22, v23, v31
	v_fmamk_f32 v23, v35, 0x3df6dbef, v24
	v_fmamk_f32 v25, v36, 0xbf7e222b, v28
	v_fmac_f32_e32 v28, 0x3f7e222b, v36
	v_fmac_f32_e32 v37, 0xbf6f5d39, v36
	v_add_f32_e32 v20, v20, v33
	v_add_f32_e32 v24, v23, v29
	;; [unrolled: 1-line block ×7, first 2 shown]
	ds_write2_b64 v102, v[0:1], v[4:5] offset1:39
	ds_write2_b64 v102, v[8:9], v[12:13] offset0:78 offset1:117
	ds_write2_b64 v102, v[16:17], v[20:21] offset0:156 offset1:195
	ds_write2_b64 v3, v[24:25], v[26:27] offset0:106 offset1:145
	ds_write2_b64 v2, v[22:23], v[18:19] offset0:56 offset1:95
	ds_write2_b64 v2, v[14:15], v[10:11] offset0:134 offset1:173
	ds_write_b64 v102, v[6:7] offset:3744
	s_waitcnt lgkmcnt(0)
	s_barrier
	buffer_gl0_inv
	ds_read2_b64 v[4:7], v102 offset1:39
	ds_read2_b64 v[8:11], v102 offset0:78 offset1:117
	v_mad_u64_u32 v[12:13], null, s10, v84, 0
	v_mad_u64_u32 v[16:17], null, s8, v101, 0
	ds_read_b64 v[28:29], v102 offset:3744
	s_waitcnt lgkmcnt(2)
	v_mul_f32_e32 v0, v98, v5
	v_mul_f32_e32 v1, v98, v4
	;; [unrolled: 1-line block ×4, first 2 shown]
	s_waitcnt lgkmcnt(1)
	v_mul_f32_e32 v22, v96, v9
	v_fmac_f32_e32 v0, v97, v4
	v_fma_f32 v4, v97, v5, -v1
	v_fmac_f32_e32 v18, v93, v6
	v_fma_f32 v6, v93, v7, -v19
	v_mul_f32_e32 v7, v96, v8
	v_cvt_f64_f32_e32 v[0:1], v0
	v_cvt_f64_f32_e32 v[4:5], v4
	v_fmac_f32_e32 v22, v95, v8
	v_cvt_f64_f32_e32 v[20:21], v6
	v_fma_f32 v6, v95, v9, -v7
	v_cvt_f64_f32_e32 v[18:19], v18
	v_mul_f32_e32 v25, v90, v10
	v_cvt_f64_f32_e32 v[8:9], v22
	s_waitcnt lgkmcnt(0)
	v_mul_f32_e32 v39, v83, v29
	v_fmac_f32_e32 v39, v82, v28
	v_mul_f64 v[0:1], v[0:1], s[0:1]
	v_mul_f64 v[14:15], v[4:5], s[0:1]
	v_cvt_f32_f64_e32 v0, v[0:1]
	v_mad_u64_u32 v[4:5], null, s11, v84, v[13:14]
	v_mov_b32_e32 v5, v17
	v_cvt_f32_f64_e32 v1, v[14:15]
	v_mul_f64 v[14:15], v[18:19], s[0:1]
	v_mul_f64 v[18:19], v[8:9], s[0:1]
	v_fma_f32 v8, v89, v11, -v25
	v_mad_u64_u32 v[22:23], null, s9, v101, v[5:6]
	v_mov_b32_e32 v13, v4
	v_cvt_f64_f32_e32 v[23:24], v6
	ds_read2_b64 v[4:7], v102 offset0:156 offset1:195
	v_lshlrev_b64 v[12:13], 3, v[12:13]
	v_mov_b32_e32 v17, v22
	v_mul_f32_e32 v22, v90, v11
	v_add_co_u32 v26, vcc_lo, s4, v12
	v_add_co_ci_u32_e32 v27, vcc_lo, s5, v13, vcc_lo
	v_lshlrev_b64 v[12:13], 3, v[16:17]
	v_mul_f64 v[16:17], v[20:21], s[0:1]
	v_fmac_f32_e32 v22, v89, v10
	s_waitcnt lgkmcnt(0)
	v_mul_f32_e32 v9, v92, v5
	v_mul_f32_e32 v10, v92, v4
	v_mul_f64 v[20:21], v[23:24], s[0:1]
	v_cvt_f64_f32_e32 v[22:23], v22
	v_cvt_f64_f32_e32 v[24:25], v8
	v_fmac_f32_e32 v9, v91, v4
	v_add_co_u32 v4, vcc_lo, v26, v12
	v_fma_f32 v8, v91, v5, -v10
	v_add_co_ci_u32_e32 v5, vcc_lo, v27, v13, vcc_lo
	v_cvt_f64_f32_e32 v[12:13], v9
	v_cvt_f64_f32_e32 v[26:27], v8
	ds_read2_b64 v[8:11], v3 offset0:106 offset1:145
	global_store_dwordx2 v[4:5], v[0:1], off
	v_cvt_f32_f64_e32 v0, v[14:15]
	v_cvt_f32_f64_e32 v1, v[16:17]
	;; [unrolled: 1-line block ×3, first 2 shown]
	v_add_co_u32 v3, vcc_lo, v4, s3
	v_add_co_ci_u32_e32 v4, vcc_lo, s2, v5, vcc_lo
	v_mul_f32_e32 v5, v86, v6
	v_cvt_f32_f64_e32 v15, v[20:21]
	v_mul_f64 v[16:17], v[22:23], s[0:1]
	v_mul_f64 v[18:19], v[24:25], s[0:1]
	v_mul_f32_e32 v24, v86, v7
	v_fma_f32 v5, v85, v7, -v5
	v_add_co_u32 v22, vcc_lo, v3, s3
	v_add_co_ci_u32_e32 v23, vcc_lo, s2, v4, vcc_lo
	v_mul_f64 v[12:13], v[12:13], s[0:1]
	v_fmac_f32_e32 v24, v85, v6
	s_waitcnt lgkmcnt(0)
	v_mul_f32_e32 v6, v88, v9
	v_mul_f64 v[20:21], v[26:27], s[0:1]
	v_mul_f32_e32 v26, v88, v8
	global_store_dwordx2 v[3:4], v[0:1], off
	v_fmac_f32_e32 v6, v87, v8
	v_cvt_f64_f32_e32 v[0:1], v5
	v_fma_f32 v9, v87, v9, -v26
	v_cvt_f64_f32_e32 v[24:25], v24
	v_cvt_f64_f32_e32 v[7:8], v6
	ds_read2_b64 v[3:6], v2 offset0:56 offset1:95
	v_cvt_f64_f32_e32 v[26:27], v9
	global_store_dwordx2 v[22:23], v[14:15], off
	v_cvt_f32_f64_e32 v16, v[16:17]
	v_cvt_f32_f64_e32 v17, v[18:19]
	v_add_co_u32 v18, vcc_lo, v22, s3
	v_mul_f32_e32 v9, v79, v10
	v_add_co_ci_u32_e32 v19, vcc_lo, s2, v23, vcc_lo
	v_cvt_f32_f64_e32 v22, v[12:13]
	ds_read2_b64 v[12:15], v2 offset0:134 offset1:173
	v_mul_f32_e32 v2, v79, v11
	v_fma_f32 v11, v78, v11, -v9
	v_cvt_f32_f64_e32 v23, v[20:21]
	v_add_co_u32 v20, vcc_lo, v18, s3
	v_fmac_f32_e32 v2, v78, v10
	v_cvt_f64_f32_e32 v[30:31], v11
	v_mul_f64 v[0:1], v[0:1], s[0:1]
	s_waitcnt lgkmcnt(1)
	v_mul_f32_e32 v33, v77, v5
	v_mul_f32_e32 v32, v77, v6
	;; [unrolled: 1-line block ×3, first 2 shown]
	v_mul_f64 v[9:10], v[26:27], s[0:1]
	v_cvt_f64_f32_e32 v[26:27], v2
	v_fma_f32 v6, v76, v6, -v33
	v_mul_f32_e32 v2, v73, v4
	v_fma_f32 v4, v72, v4, -v11
	v_fmac_f32_e32 v32, v76, v5
	v_mul_f64 v[7:8], v[7:8], s[0:1]
	v_cvt_f64_f32_e32 v[34:35], v6
	s_waitcnt lgkmcnt(0)
	v_mul_f32_e32 v36, v75, v13
	v_mul_f32_e32 v6, v75, v12
	;; [unrolled: 1-line block ×4, first 2 shown]
	v_fmac_f32_e32 v2, v72, v3
	v_fmac_f32_e32 v36, v74, v12
	v_mul_f32_e32 v12, v83, v28
	v_fma_f32 v6, v74, v13, -v6
	v_fmac_f32_e32 v38, v80, v14
	v_fma_f32 v15, v80, v15, -v11
	v_cvt_f64_f32_e32 v[2:3], v2
	v_cvt_f64_f32_e32 v[4:5], v4
	v_fma_f32 v40, v82, v29, -v12
	v_cvt_f64_f32_e32 v[32:33], v32
	v_mul_f64 v[24:25], v[24:25], s[0:1]
	v_cvt_f64_f32_e32 v[36:37], v36
	v_cvt_f64_f32_e32 v[11:12], v6
	;; [unrolled: 1-line block ×6, first 2 shown]
	v_add_co_ci_u32_e32 v21, vcc_lo, s2, v19, vcc_lo
	global_store_dwordx2 v[18:19], v[16:17], off
	global_store_dwordx2 v[20:21], v[22:23], off
	v_cvt_f32_f64_e32 v16, v[0:1]
	v_mul_f64 v[0:1], v[26:27], s[0:1]
	v_mul_f64 v[17:18], v[30:31], s[0:1]
	v_add_co_u32 v19, vcc_lo, v20, s3
	v_add_co_ci_u32_e32 v20, vcc_lo, s2, v21, vcc_lo
	v_mul_f64 v[2:3], v[2:3], s[0:1]
	v_mul_f64 v[4:5], v[4:5], s[0:1]
	v_cvt_f32_f64_e32 v6, v[7:8]
	v_cvt_f32_f64_e32 v7, v[9:10]
	v_mul_f64 v[8:9], v[32:33], s[0:1]
	v_mul_f64 v[21:22], v[34:35], s[0:1]
	v_cvt_f32_f64_e32 v15, v[24:25]
	v_mul_f64 v[23:24], v[36:37], s[0:1]
	v_mul_f64 v[10:11], v[11:12], s[0:1]
	;; [unrolled: 1-line block ×6, first 2 shown]
	v_add_co_u32 v31, vcc_lo, v19, s3
	v_add_co_ci_u32_e32 v32, vcc_lo, s2, v20, vcc_lo
	v_cvt_f32_f64_e32 v0, v[0:1]
	v_cvt_f32_f64_e32 v1, v[17:18]
	v_add_co_u32 v17, vcc_lo, v31, s3
	v_add_co_ci_u32_e32 v18, vcc_lo, s2, v32, vcc_lo
	v_cvt_f32_f64_e32 v2, v[2:3]
	v_cvt_f32_f64_e32 v3, v[4:5]
	;; [unrolled: 4-line block ×3, first 2 shown]
	v_cvt_f32_f64_e32 v21, v[23:24]
	v_cvt_f32_f64_e32 v22, v[10:11]
	;; [unrolled: 1-line block ×6, first 2 shown]
	v_add_co_u32 v23, vcc_lo, v4, s3
	v_add_co_ci_u32_e32 v24, vcc_lo, s2, v5, vcc_lo
	global_store_dwordx2 v[19:20], v[15:16], off
	v_add_co_u32 v14, vcc_lo, v23, s3
	v_add_co_ci_u32_e32 v15, vcc_lo, s2, v24, vcc_lo
	global_store_dwordx2 v[31:32], v[6:7], off
	;; [unrolled: 3-line block ×4, first 2 shown]
	global_store_dwordx2 v[23:24], v[8:9], off
	global_store_dwordx2 v[14:15], v[21:22], off
	;; [unrolled: 1-line block ×4, first 2 shown]
.LBB0_10:
	s_endpgm
	.section	.rodata,"a",@progbits
	.p2align	6, 0x0
	.amdhsa_kernel bluestein_single_fwd_len507_dim1_sp_op_CI_CI
		.amdhsa_group_segment_fixed_size 12168
		.amdhsa_private_segment_fixed_size 0
		.amdhsa_kernarg_size 104
		.amdhsa_user_sgpr_count 6
		.amdhsa_user_sgpr_private_segment_buffer 1
		.amdhsa_user_sgpr_dispatch_ptr 0
		.amdhsa_user_sgpr_queue_ptr 0
		.amdhsa_user_sgpr_kernarg_segment_ptr 1
		.amdhsa_user_sgpr_dispatch_id 0
		.amdhsa_user_sgpr_flat_scratch_init 0
		.amdhsa_user_sgpr_private_segment_size 0
		.amdhsa_wavefront_size32 1
		.amdhsa_uses_dynamic_stack 0
		.amdhsa_system_sgpr_private_segment_wavefront_offset 0
		.amdhsa_system_sgpr_workgroup_id_x 1
		.amdhsa_system_sgpr_workgroup_id_y 0
		.amdhsa_system_sgpr_workgroup_id_z 0
		.amdhsa_system_sgpr_workgroup_info 0
		.amdhsa_system_vgpr_workitem_id 0
		.amdhsa_next_free_vgpr 231
		.amdhsa_next_free_sgpr 20
		.amdhsa_reserve_vcc 1
		.amdhsa_reserve_flat_scratch 0
		.amdhsa_float_round_mode_32 0
		.amdhsa_float_round_mode_16_64 0
		.amdhsa_float_denorm_mode_32 3
		.amdhsa_float_denorm_mode_16_64 3
		.amdhsa_dx10_clamp 1
		.amdhsa_ieee_mode 1
		.amdhsa_fp16_overflow 0
		.amdhsa_workgroup_processor_mode 1
		.amdhsa_memory_ordered 1
		.amdhsa_forward_progress 0
		.amdhsa_shared_vgpr_count 0
		.amdhsa_exception_fp_ieee_invalid_op 0
		.amdhsa_exception_fp_denorm_src 0
		.amdhsa_exception_fp_ieee_div_zero 0
		.amdhsa_exception_fp_ieee_overflow 0
		.amdhsa_exception_fp_ieee_underflow 0
		.amdhsa_exception_fp_ieee_inexact 0
		.amdhsa_exception_int_div_zero 0
	.end_amdhsa_kernel
	.text
.Lfunc_end0:
	.size	bluestein_single_fwd_len507_dim1_sp_op_CI_CI, .Lfunc_end0-bluestein_single_fwd_len507_dim1_sp_op_CI_CI
                                        ; -- End function
	.section	.AMDGPU.csdata,"",@progbits
; Kernel info:
; codeLenInByte = 16948
; NumSgprs: 22
; NumVgprs: 231
; ScratchSize: 0
; MemoryBound: 0
; FloatMode: 240
; IeeeMode: 1
; LDSByteSize: 12168 bytes/workgroup (compile time only)
; SGPRBlocks: 2
; VGPRBlocks: 28
; NumSGPRsForWavesPerEU: 22
; NumVGPRsForWavesPerEU: 231
; Occupancy: 4
; WaveLimiterHint : 1
; COMPUTE_PGM_RSRC2:SCRATCH_EN: 0
; COMPUTE_PGM_RSRC2:USER_SGPR: 6
; COMPUTE_PGM_RSRC2:TRAP_HANDLER: 0
; COMPUTE_PGM_RSRC2:TGID_X_EN: 1
; COMPUTE_PGM_RSRC2:TGID_Y_EN: 0
; COMPUTE_PGM_RSRC2:TGID_Z_EN: 0
; COMPUTE_PGM_RSRC2:TIDIG_COMP_CNT: 0
	.text
	.p2alignl 6, 3214868480
	.fill 48, 4, 3214868480
	.type	__hip_cuid_9710f3e10f140000,@object ; @__hip_cuid_9710f3e10f140000
	.section	.bss,"aw",@nobits
	.globl	__hip_cuid_9710f3e10f140000
__hip_cuid_9710f3e10f140000:
	.byte	0                               ; 0x0
	.size	__hip_cuid_9710f3e10f140000, 1

	.ident	"AMD clang version 19.0.0git (https://github.com/RadeonOpenCompute/llvm-project roc-6.4.0 25133 c7fe45cf4b819c5991fe208aaa96edf142730f1d)"
	.section	".note.GNU-stack","",@progbits
	.addrsig
	.addrsig_sym __hip_cuid_9710f3e10f140000
	.amdgpu_metadata
---
amdhsa.kernels:
  - .args:
      - .actual_access:  read_only
        .address_space:  global
        .offset:         0
        .size:           8
        .value_kind:     global_buffer
      - .actual_access:  read_only
        .address_space:  global
        .offset:         8
        .size:           8
        .value_kind:     global_buffer
      - .actual_access:  read_only
        .address_space:  global
        .offset:         16
        .size:           8
        .value_kind:     global_buffer
      - .actual_access:  read_only
        .address_space:  global
        .offset:         24
        .size:           8
        .value_kind:     global_buffer
      - .actual_access:  read_only
        .address_space:  global
        .offset:         32
        .size:           8
        .value_kind:     global_buffer
      - .offset:         40
        .size:           8
        .value_kind:     by_value
      - .address_space:  global
        .offset:         48
        .size:           8
        .value_kind:     global_buffer
      - .address_space:  global
        .offset:         56
        .size:           8
        .value_kind:     global_buffer
      - .address_space:  global
        .offset:         64
        .size:           8
        .value_kind:     global_buffer
      - .address_space:  global
        .offset:         72
        .size:           8
        .value_kind:     global_buffer
      - .offset:         80
        .size:           4
        .value_kind:     by_value
      - .address_space:  global
        .offset:         88
        .size:           8
        .value_kind:     global_buffer
      - .address_space:  global
        .offset:         96
        .size:           8
        .value_kind:     global_buffer
    .group_segment_fixed_size: 12168
    .kernarg_segment_align: 8
    .kernarg_segment_size: 104
    .language:       OpenCL C
    .language_version:
      - 2
      - 0
    .max_flat_workgroup_size: 117
    .name:           bluestein_single_fwd_len507_dim1_sp_op_CI_CI
    .private_segment_fixed_size: 0
    .sgpr_count:     22
    .sgpr_spill_count: 0
    .symbol:         bluestein_single_fwd_len507_dim1_sp_op_CI_CI.kd
    .uniform_work_group_size: 1
    .uses_dynamic_stack: false
    .vgpr_count:     231
    .vgpr_spill_count: 0
    .wavefront_size: 32
    .workgroup_processor_mode: 1
amdhsa.target:   amdgcn-amd-amdhsa--gfx1030
amdhsa.version:
  - 1
  - 2
...

	.end_amdgpu_metadata
